;; amdgpu-corpus repo=ROCm/rocFFT kind=compiled arch=gfx1201 opt=O3
	.text
	.amdgcn_target "amdgcn-amd-amdhsa--gfx1201"
	.amdhsa_code_object_version 6
	.protected	bluestein_single_fwd_len306_dim1_sp_op_CI_CI ; -- Begin function bluestein_single_fwd_len306_dim1_sp_op_CI_CI
	.globl	bluestein_single_fwd_len306_dim1_sp_op_CI_CI
	.p2align	8
	.type	bluestein_single_fwd_len306_dim1_sp_op_CI_CI,@function
bluestein_single_fwd_len306_dim1_sp_op_CI_CI: ; @bluestein_single_fwd_len306_dim1_sp_op_CI_CI
; %bb.0:
	s_load_b128 s[4:7], s[0:1], 0x28
	v_mul_u32_u24_e32 v1, 0x788, v0
	s_mov_b32 s2, exec_lo
	s_delay_alu instid0(VALU_DEP_1) | instskip(NEXT) | instid1(VALU_DEP_1)
	v_lshrrev_b32_e32 v1, 16, v1
	v_mad_co_u64_u32 v[40:41], null, ttmp9, 7, v[1:2]
	v_mov_b32_e32 v41, 0
                                        ; kill: def $vgpr2 killed $sgpr0 killed $exec
	s_wait_kmcnt 0x0
	s_delay_alu instid0(VALU_DEP_1)
	v_cmpx_gt_u64_e64 s[4:5], v[40:41]
	s_cbranch_execz .LBB0_23
; %bb.1:
	v_mul_hi_u32 v2, 0x24924925, v40
	v_mul_lo_u16 v1, v1, 34
	s_clause 0x1
	s_load_b64 s[12:13], s[0:1], 0x0
	s_load_b64 s[14:15], s[0:1], 0x38
	s_delay_alu instid0(VALU_DEP_1) | instskip(NEXT) | instid1(VALU_DEP_3)
	v_sub_nc_u16 v0, v0, v1
	v_sub_nc_u32_e32 v3, v40, v2
	s_delay_alu instid0(VALU_DEP_2) | instskip(SKIP_1) | instid1(VALU_DEP_3)
	v_and_b32_e32 v79, 0xffff, v0
	v_cmp_gt_u16_e32 vcc_lo, 18, v0
	v_lshrrev_b32_e32 v3, 1, v3
	s_delay_alu instid0(VALU_DEP_3) | instskip(SKIP_1) | instid1(VALU_DEP_3)
	v_lshlrev_b32_e32 v78, 3, v79
	v_or_b32_e32 v77, 0x120, v79
	v_add_nc_u32_e32 v2, v3, v2
	s_delay_alu instid0(VALU_DEP_1) | instskip(NEXT) | instid1(VALU_DEP_1)
	v_lshrrev_b32_e32 v2, 2, v2
	v_mul_lo_u32 v2, v2, 7
	s_delay_alu instid0(VALU_DEP_1) | instskip(NEXT) | instid1(VALU_DEP_1)
	v_sub_nc_u32_e32 v1, v40, v2
	v_mul_u32_u24_e32 v61, 0x132, v1
	s_delay_alu instid0(VALU_DEP_1)
	v_lshlrev_b32_e32 v80, 3, v61
	s_and_saveexec_b32 s3, vcc_lo
	s_cbranch_execz .LBB0_3
; %bb.2:
	s_load_b64 s[4:5], s[0:1], 0x18
	s_delay_alu instid0(VALU_DEP_1)
	v_lshl_add_u32 v74, v79, 3, v80
	s_wait_kmcnt 0x0
	s_load_b128 s[8:11], s[4:5], 0x0
	s_clause 0x7
	global_load_b64 v[4:5], v78, s[12:13]
	global_load_b64 v[6:7], v78, s[12:13] offset:144
	global_load_b64 v[8:9], v78, s[12:13] offset:288
	;; [unrolled: 1-line block ×7, first 2 shown]
	s_wait_kmcnt 0x0
	v_mad_co_u64_u32 v[0:1], null, s10, v40, 0
	v_mad_co_u64_u32 v[2:3], null, s8, v79, 0
	s_mul_u64 s[4:5], s[8:9], 0x90
	s_delay_alu instid0(VALU_DEP_1) | instskip(SKIP_1) | instid1(VALU_DEP_1)
	v_mad_co_u64_u32 v[20:21], null, s11, v40, v[1:2]
	v_mad_co_u64_u32 v[21:22], null, s8, v77, 0
	v_dual_mov_b32 v1, v20 :: v_dual_mov_b32 v20, v22
	s_delay_alu instid0(VALU_DEP_1)
	v_lshlrev_b64_e32 v[0:1], 3, v[0:1]
	s_wait_loadcnt 0x7
	v_mad_co_u64_u32 v[23:24], null, s9, v79, v[3:4]
	s_clause 0x6
	global_load_b64 v[24:25], v78, s[12:13] offset:1152
	global_load_b64 v[26:27], v78, s[12:13] offset:1296
	;; [unrolled: 1-line block ×7, first 2 shown]
	v_mov_b32_e32 v3, v23
	v_mad_co_u64_u32 v[22:23], null, s9, v77, v[20:21]
	v_add_co_u32 v23, s2, s6, v0
	s_delay_alu instid0(VALU_DEP_3) | instskip(SKIP_1) | instid1(VALU_DEP_2)
	v_lshlrev_b64_e32 v[2:3], 3, v[2:3]
	v_add_co_ci_u32_e64 v38, s2, s7, v1, s2
	v_add_co_u32 v0, s2, v23, v2
	s_wait_alu 0xf1ff
	s_delay_alu instid0(VALU_DEP_2)
	v_add_co_ci_u32_e64 v1, s2, v38, v3, s2
	v_lshlrev_b64_e32 v[2:3], 3, v[21:22]
	s_wait_alu 0xfffe
	v_add_co_u32 v20, s2, v0, s4
	s_wait_alu 0xf1ff
	v_add_co_ci_u32_e64 v21, s2, s5, v1, s2
	global_load_b64 v[0:1], v[0:1], off
	v_add_co_u32 v2, s2, v23, v2
	s_wait_alu 0xf1ff
	v_add_co_ci_u32_e64 v3, s2, v38, v3, s2
	v_add_co_u32 v22, s2, v20, s4
	s_wait_alu 0xf1ff
	v_add_co_ci_u32_e64 v23, s2, s5, v21, s2
	global_load_b64 v[2:3], v[2:3], off
	v_add_co_u32 v38, s2, v22, s4
	s_wait_alu 0xf1ff
	v_add_co_ci_u32_e64 v39, s2, s5, v23, s2
	v_add_nc_u32_e32 v75, v80, v78
	s_delay_alu instid0(VALU_DEP_3) | instskip(SKIP_1) | instid1(VALU_DEP_3)
	v_add_co_u32 v41, s2, v38, s4
	s_wait_alu 0xf1ff
	v_add_co_ci_u32_e64 v42, s2, s5, v39, s2
	s_clause 0x2
	global_load_b64 v[20:21], v[20:21], off
	global_load_b64 v[22:23], v[22:23], off
	;; [unrolled: 1-line block ×3, first 2 shown]
	v_add_co_u32 v43, s2, v41, s4
	s_wait_alu 0xf1ff
	v_add_co_ci_u32_e64 v44, s2, s5, v42, s2
	global_load_b64 v[41:42], v[41:42], off
	v_add_co_u32 v45, s2, v43, s4
	s_wait_alu 0xf1ff
	v_add_co_ci_u32_e64 v46, s2, s5, v44, s2
	global_load_b64 v[43:44], v[43:44], off
	;; [unrolled: 4-line block ×11, first 2 shown]
	s_clause 0x1
	global_load_b64 v[66:67], v78, s[12:13] offset:2016
	global_load_b64 v[68:69], v78, s[12:13] offset:2160
	global_load_b64 v[64:65], v[64:65], off
	s_wait_loadcnt 0x12
	v_mul_f32_e32 v70, v1, v5
	v_mul_f32_e32 v5, v0, v5
	s_delay_alu instid0(VALU_DEP_2) | instskip(SKIP_3) | instid1(VALU_DEP_2)
	v_fmac_f32_e32 v70, v0, v4
	s_wait_loadcnt 0x11
	v_mul_f32_e32 v72, v3, v37
	v_mul_f32_e32 v37, v2, v37
	v_fmac_f32_e32 v72, v2, v36
	s_delay_alu instid0(VALU_DEP_2)
	v_fma_f32 v73, v3, v36, -v37
	s_wait_loadcnt 0x10
	v_mul_f32_e32 v0, v21, v7
	v_fma_f32 v71, v1, v4, -v5
	s_wait_loadcnt 0xf
	v_dual_mul_f32 v1, v20, v7 :: v_dual_mul_f32 v2, v23, v9
	s_wait_loadcnt 0xe
	v_dual_mul_f32 v5, v38, v11 :: v_dual_fmac_f32 v0, v20, v6
	v_mul_f32_e32 v3, v22, v9
	s_delay_alu instid0(VALU_DEP_3)
	v_fma_f32 v1, v21, v6, -v1
	s_wait_loadcnt 0xd
	v_dual_fmac_f32 v2, v22, v8 :: v_dual_mul_f32 v7, v41, v13
	ds_store_b64 v74, v[70:71]
	v_fma_f32 v3, v23, v8, -v3
	v_mul_f32_e32 v4, v39, v11
	s_wait_loadcnt 0xc
	v_dual_mul_f32 v6, v42, v13 :: v_dual_mul_f32 v9, v43, v15
	v_mul_f32_e32 v8, v44, v15
	ds_store_2addr_b64 v75, v[0:1], v[2:3] offset0:18 offset1:36
	s_wait_loadcnt 0xb
	v_mul_f32_e32 v0, v46, v17
	v_dual_mul_f32 v1, v45, v17 :: v_dual_fmac_f32 v4, v38, v10
	v_fma_f32 v5, v39, v10, -v5
	v_fmac_f32_e32 v6, v41, v12
	v_fma_f32 v7, v42, v12, -v7
	v_fmac_f32_e32 v8, v43, v14
	;; [unrolled: 2-line block ×3, first 2 shown]
	v_fma_f32 v1, v46, v16, -v1
	s_wait_loadcnt 0xa
	v_mul_f32_e32 v2, v48, v19
	v_mul_f32_e32 v3, v47, v19
	v_add_nc_u32_e32 v14, 0x800, v75
	ds_store_2addr_b64 v75, v[8:9], v[0:1] offset0:90 offset1:108
	s_wait_loadcnt 0x8
	v_mul_f32_e32 v1, v51, v27
	ds_store_2addr_b64 v75, v[4:5], v[6:7] offset0:54 offset1:72
	v_mul_f32_e32 v4, v50, v25
	v_dual_mul_f32 v5, v49, v25 :: v_dual_fmac_f32 v2, v47, v18
	v_fma_f32 v3, v48, v18, -v3
	v_mul_f32_e32 v0, v52, v27
	s_delay_alu instid0(VALU_DEP_4) | instskip(NEXT) | instid1(VALU_DEP_4)
	v_fmac_f32_e32 v4, v49, v24
	v_fma_f32 v5, v50, v24, -v5
	s_wait_loadcnt 0x7
	v_mul_f32_e32 v6, v54, v29
	v_fma_f32 v1, v52, v26, -v1
	v_fmac_f32_e32 v0, v51, v26
	s_delay_alu instid0(VALU_DEP_3)
	v_fmac_f32_e32 v6, v53, v28
	s_wait_loadcnt 0x4
	v_mul_f32_e32 v8, v60, v35
	v_mul_f32_e32 v9, v59, v35
	s_wait_loadcnt 0x2
	v_mul_f32_e32 v11, v62, v67
	s_wait_loadcnt 0x0
	v_dual_mul_f32 v10, v63, v67 :: v_dual_mul_f32 v13, v64, v69
	ds_store_2addr_b64 v75, v[2:3], v[4:5] offset0:126 offset1:144
	v_dual_mul_f32 v3, v53, v29 :: v_dual_mul_f32 v2, v56, v31
	v_mul_f32_e32 v4, v58, v33
	v_mul_f32_e32 v5, v57, v33
	;; [unrolled: 1-line block ×3, first 2 shown]
	s_delay_alu instid0(VALU_DEP_4)
	v_fma_f32 v7, v54, v28, -v3
	v_mul_f32_e32 v3, v55, v31
	v_fmac_f32_e32 v2, v55, v30
	v_fmac_f32_e32 v4, v57, v32
	v_fma_f32 v5, v58, v32, -v5
	v_fmac_f32_e32 v8, v59, v34
	v_fma_f32 v3, v56, v30, -v3
	v_fma_f32 v9, v60, v34, -v9
	v_fmac_f32_e32 v10, v62, v66
	v_fma_f32 v11, v63, v66, -v11
	v_fmac_f32_e32 v12, v64, v68
	v_fma_f32 v13, v65, v68, -v13
	ds_store_2addr_b64 v75, v[0:1], v[6:7] offset0:162 offset1:180
	ds_store_2addr_b64 v75, v[2:3], v[4:5] offset0:198 offset1:216
	;; [unrolled: 1-line block ×4, first 2 shown]
.LBB0_3:
	s_or_b32 exec_lo, exec_lo, s3
	v_mov_b32_e32 v4, 0
	v_mov_b32_e32 v5, 0
	global_wb scope:SCOPE_SE
	s_wait_dscnt 0x0
	s_wait_kmcnt 0x0
	s_barrier_signal -1
	s_barrier_wait -1
	global_inv scope:SCOPE_SE
                                        ; implicit-def: $vgpr22
                                        ; implicit-def: $vgpr16
                                        ; implicit-def: $vgpr12
                                        ; implicit-def: $vgpr8
                                        ; implicit-def: $vgpr51
                                        ; implicit-def: $vgpr34
                                        ; implicit-def: $vgpr26
                                        ; implicit-def: $vgpr30
	s_and_saveexec_b32 s2, vcc_lo
	s_cbranch_execz .LBB0_5
; %bb.4:
	v_lshl_add_u32 v0, v61, 3, v78
	ds_load_2addr_b64 v[4:7], v0 offset1:18
	ds_load_2addr_b64 v[28:31], v0 offset0:36 offset1:54
	ds_load_2addr_b64 v[24:27], v0 offset0:72 offset1:90
	v_add_nc_u32_e32 v1, 0x400, v0
	ds_load_2addr_b64 v[32:35], v0 offset0:108 offset1:126
	ds_load_2addr_b64 v[20:23], v0 offset0:144 offset1:162
	;; [unrolled: 1-line block ×5, first 2 shown]
	ds_load_b64 v[51:52], v0 offset:2304
.LBB0_5:
	s_wait_alu 0xfffe
	s_or_b32 exec_lo, exec_lo, s2
	s_wait_dscnt 0x0
	v_dual_sub_f32 v37, v7, v52 :: v_dual_sub_f32 v36, v6, v51
	v_dual_add_f32 v84, v51, v6 :: v_dual_add_f32 v85, v52, v7
	v_dual_add_f32 v71, v10, v28 :: v_dual_sub_f32 v38, v28, v10
	s_delay_alu instid0(VALU_DEP_3) | instskip(SKIP_1) | instid1(VALU_DEP_2)
	v_dual_mul_f32 v53, 0xbeb8f4ab, v37 :: v_dual_mul_f32 v54, 0xbeb8f4ab, v36
	v_dual_sub_f32 v39, v29, v11 :: v_dual_sub_f32 v50, v31, v9
	v_dual_sub_f32 v49, v30, v8 :: v_dual_fmamk_f32 v0, v84, 0x3f6eb680, v53
	s_delay_alu instid0(VALU_DEP_3) | instskip(NEXT) | instid1(VALU_DEP_3)
	v_fma_f32 v1, 0x3f6eb680, v85, -v54
	v_dual_add_f32 v72, v11, v29 :: v_dual_mul_f32 v55, 0xbf2c7751, v39
	v_mul_f32_e32 v56, 0xbf2c7751, v38
	s_delay_alu instid0(VALU_DEP_4) | instskip(NEXT) | instid1(VALU_DEP_4)
	v_dual_mul_f32 v58, 0xbf65296c, v49 :: v_dual_sub_f32 v81, v24, v14
	v_dual_add_f32 v1, v1, v5 :: v_dual_add_f32 v0, v0, v4
	v_mul_f32_e32 v59, 0xbf2c7751, v37
	s_delay_alu instid0(VALU_DEP_4) | instskip(SKIP_3) | instid1(VALU_DEP_4)
	v_fma_f32 v3, 0x3f3d2fb0, v72, -v56
	v_add_f32_e32 v82, v9, v31
	v_dual_fmamk_f32 v2, v71, 0x3f3d2fb0, v55 :: v_dual_add_f32 v75, v8, v30
	v_mul_f32_e32 v57, 0xbf65296c, v50
	v_add_f32_e32 v1, v3, v1
	s_delay_alu instid0(VALU_DEP_4) | instskip(NEXT) | instid1(VALU_DEP_4)
	v_fma_f32 v3, 0x3ee437d1, v82, -v58
	v_add_f32_e32 v0, v2, v0
	v_sub_f32_e32 v138, v25, v15
	v_dual_add_f32 v88, v15, v25 :: v_dual_sub_f32 v155, v33, v19
	v_dual_mul_f32 v62, 0xbf7ee86f, v81 :: v_dual_add_f32 v101, v18, v32
	v_dual_fmamk_f32 v2, v75, 0x3ee437d1, v57 :: v_dual_add_f32 v87, v14, v24
	s_delay_alu instid0(VALU_DEP_4) | instskip(SKIP_1) | instid1(VALU_DEP_4)
	v_dual_add_f32 v1, v3, v1 :: v_dual_mul_f32 v60, 0xbf7ee86f, v138
	v_sub_f32_e32 v141, v27, v13
	v_fma_f32 v3, 0x3dbcf732, v88, -v62
	v_sub_f32_e32 v140, v26, v12
	v_add_f32_e32 v0, v2, v0
	v_dual_fmamk_f32 v2, v87, 0x3dbcf732, v60 :: v_dual_add_f32 v103, v16, v34
	v_dual_add_f32 v98, v12, v26 :: v_dual_mul_f32 v65, 0xbf4c4adb, v155
	v_dual_mul_f32 v63, 0xbf763a35, v141 :: v_dual_add_f32 v100, v13, v27
	v_sub_f32_e32 v159, v35, v17
	v_dual_add_f32 v1, v3, v1 :: v_dual_mul_f32 v64, 0xbf763a35, v140
	v_sub_f32_e32 v154, v32, v18
	v_dual_sub_f32 v160, v34, v16 :: v_dual_mul_f32 v83, 0xbf7ee86f, v39
	s_delay_alu instid0(VALU_DEP_4) | instskip(NEXT) | instid1(VALU_DEP_4)
	v_mul_f32_e32 v67, 0xbf06c442, v159
	v_fma_f32 v3, 0xbe8c1d8e, v100, -v64
	v_add_f32_e32 v0, v2, v0
	v_dual_fmamk_f32 v2, v98, 0xbe8c1d8e, v63 :: v_dual_sub_f32 v163, v21, v23
	v_add_f32_e32 v102, v19, v33
	v_dual_mul_f32 v66, 0xbf4c4adb, v154 :: v_dual_add_f32 v113, v23, v21
	v_dual_mul_f32 v94, 0xbf2c7751, v36 :: v_dual_add_f32 v1, v3, v1
	v_dual_add_f32 v104, v17, v35 :: v_dual_mul_f32 v89, 0xbf4c4adb, v50
	v_mul_f32_e32 v69, 0xbe3c28d5, v163
	s_delay_alu instid0(VALU_DEP_4) | instskip(NEXT) | instid1(VALU_DEP_4)
	v_fma_f32 v3, 0xbf1a4643, v102, -v66
	v_fma_f32 v42, 0x3f3d2fb0, v85, -v94
	v_mul_f32_e32 v68, 0xbf06c442, v160
	v_dual_add_f32 v0, v2, v0 :: v_dual_fmamk_f32 v41, v84, 0x3f3d2fb0, v59
	s_delay_alu instid0(VALU_DEP_4) | instskip(SKIP_1) | instid1(VALU_DEP_4)
	v_dual_add_f32 v1, v3, v1 :: v_dual_add_f32 v112, v22, v20
	v_mul_f32_e32 v91, 0x3f06c442, v141
	v_fma_f32 v3, 0xbf59a7d5, v104, -v68
	v_fmamk_f32 v2, v101, 0xbf1a4643, v65
	v_mul_f32_e32 v90, 0xbe3c28d5, v138
	v_mul_f32_e32 v95, 0x3f06c442, v140
	v_fmamk_f32 v45, v98, 0xbf59a7d5, v91
	s_delay_alu instid0(VALU_DEP_4) | instskip(SKIP_4) | instid1(VALU_DEP_4)
	v_dual_add_f32 v1, v3, v1 :: v_dual_add_f32 v0, v2, v0
	v_dual_add_f32 v3, v42, v5 :: v_dual_fmamk_f32 v2, v103, 0xbf59a7d5, v67
	v_mul_f32_e32 v96, 0xbf7ee86f, v38
	v_fmamk_f32 v42, v75, 0xbf1a4643, v89
	v_dual_mul_f32 v73, 0x3f763a35, v155 :: v_dual_sub_f32 v162, v20, v22
	v_dual_mul_f32 v93, 0xbe3c28d5, v81 :: v_dual_add_f32 v0, v2, v0
	v_dual_fmamk_f32 v43, v112, 0xbf7ba420, v69 :: v_dual_add_f32 v2, v41, v4
	v_fmamk_f32 v41, v71, 0x3dbcf732, v83
	v_mul_f32_e32 v116, 0xbf4c4adb, v38
	v_mul_f32_e32 v97, 0x3f763a35, v154
	;; [unrolled: 1-line block ×4, first 2 shown]
	v_add_f32_e32 v2, v41, v2
	v_fma_f32 v41, 0x3dbcf732, v72, -v96
	v_mul_f32_e32 v111, 0x3e3c28d5, v50
	v_mul_f32_e32 v117, 0x3e3c28d5, v49
	v_dual_mul_f32 v86, 0x3eb8f4ab, v163 :: v_dual_mul_f32 v99, 0x3eb8f4ab, v162
	v_add_f32_e32 v2, v42, v2
	v_fmamk_f32 v42, v87, 0xbf7ba420, v90
	v_dual_mul_f32 v92, 0xbf4c4adb, v49 :: v_dual_add_f32 v3, v41, v3
	v_dual_mul_f32 v109, 0x3f763a35, v138 :: v_dual_mul_f32 v118, 0x3f763a35, v81
	v_dual_mul_f32 v106, 0xbeb8f4ab, v155 :: v_dual_mul_f32 v119, 0xbeb8f4ab, v154
	s_delay_alu instid0(VALU_DEP_3) | instskip(SKIP_1) | instid1(VALU_DEP_4)
	v_fma_f32 v41, 0xbf1a4643, v82, -v92
	v_mul_f32_e32 v105, 0x3f2c7751, v141
	v_fma_f32 v46, 0xbe8c1d8e, v88, -v118
	v_dual_mul_f32 v108, 0xbf7ee86f, v159 :: v_dual_mul_f32 v135, 0xbf7ee86f, v36
	s_delay_alu instid0(VALU_DEP_4) | instskip(SKIP_4) | instid1(VALU_DEP_4)
	v_add_f32_e32 v3, v41, v3
	v_add_f32_e32 v41, v42, v2
	v_mul_f32_e32 v70, 0xbe3c28d5, v162
	v_fma_f32 v42, 0xbf7ba420, v88, -v93
	v_dual_add_f32 v2, v43, v0 :: v_dual_fmamk_f32 v43, v101, 0xbe8c1d8e, v73
	v_add_f32_e32 v41, v45, v41
	s_delay_alu instid0(VALU_DEP_4) | instskip(NEXT) | instid1(VALU_DEP_4)
	v_fma_f32 v44, 0xbf7ba420, v113, -v70
	v_add_f32_e32 v0, v42, v3
	v_fma_f32 v42, 0xbf59a7d5, v100, -v95
	v_mul_f32_e32 v124, 0xbf7ee86f, v37
	v_dual_add_f32 v41, v43, v41 :: v_dual_mul_f32 v74, 0x3f65296c, v159
	v_add_f32_e32 v3, v44, v1
	v_fma_f32 v44, 0xbf1a4643, v72, -v116
	v_mul_f32_e32 v115, 0xbf65296c, v36
	v_add_f32_e32 v0, v42, v0
	v_fma_f32 v1, 0xbe8c1d8e, v102, -v97
	v_fmamk_f32 v42, v103, 0x3ee437d1, v74
	v_dual_mul_f32 v127, 0xbe3c28d5, v39 :: v_dual_mul_f32 v136, 0xbe3c28d5, v38
	v_fma_f32 v43, 0x3ee437d1, v85, -v115
	v_mul_f32_e32 v76, 0x3f65296c, v160
	s_delay_alu instid0(VALU_DEP_4) | instskip(NEXT) | instid1(VALU_DEP_3)
	v_dual_add_f32 v0, v1, v0 :: v_dual_add_f32 v1, v42, v41
	v_dual_fmamk_f32 v42, v84, 0x3ee437d1, v107 :: v_dual_add_f32 v43, v43, v5
	s_delay_alu instid0(VALU_DEP_3) | instskip(SKIP_3) | instid1(VALU_DEP_4)
	v_fma_f32 v41, 0x3ee437d1, v104, -v76
	v_fma_f32 v47, 0xbf7ba420, v72, -v136
	v_mul_f32_e32 v121, 0xbf7ee86f, v160
	v_dual_mul_f32 v114, 0xbf06c442, v163 :: v_dual_mul_f32 v131, 0xbf06c442, v154
	v_add_f32_e32 v41, v41, v0
	v_add_f32_e32 v0, v42, v4
	v_fmamk_f32 v42, v71, 0xbf1a4643, v110
	v_dual_mul_f32 v125, 0x3eb8f4ab, v138 :: v_dual_mul_f32 v134, 0x3eb8f4ab, v81
	v_mul_f32_e32 v130, 0xbf65296c, v140
	v_dual_mul_f32 v122, 0xbf06c442, v162 :: v_dual_mul_f32 v129, 0xbf06c442, v155
	s_delay_alu instid0(VALU_DEP_4)
	v_add_f32_e32 v0, v42, v0
	v_dual_add_f32 v42, v44, v43 :: v_dual_fmamk_f32 v43, v75, 0xbf7ba420, v111
	v_fma_f32 v44, 0xbf7ba420, v82, -v117
	v_mul_f32_e32 v137, 0x3f763a35, v49
	v_mul_f32_e32 v123, 0x3f763a35, v50
	v_dual_mul_f32 v128, 0x3f4c4adb, v159 :: v_dual_mul_f32 v133, 0x3f4c4adb, v160
	s_delay_alu instid0(VALU_DEP_4) | instskip(SKIP_3) | instid1(VALU_DEP_4)
	v_dual_add_f32 v43, v43, v0 :: v_dual_add_f32 v42, v44, v42
	v_fmamk_f32 v45, v112, 0x3f6eb680, v86
	v_fmamk_f32 v44, v87, 0xbe8c1d8e, v109
	v_dual_mul_f32 v145, 0x3f2c7751, v50 :: v_dual_mul_f32 v132, 0x3f2c7751, v163
	v_add_f32_e32 v42, v46, v42
	s_delay_alu instid0(VALU_DEP_3) | instskip(SKIP_4) | instid1(VALU_DEP_4)
	v_dual_add_f32 v0, v45, v1 :: v_dual_add_f32 v1, v44, v43
	v_fmamk_f32 v43, v98, 0x3f3d2fb0, v105
	v_fma_f32 v45, 0x3f6eb680, v113, -v99
	v_fmamk_f32 v46, v103, 0x3dbcf732, v108
	v_dual_fmamk_f32 v48, v75, 0x3f3d2fb0, v145 :: v_dual_fmamk_f32 v139, v112, 0x3f3d2fb0, v132
	v_add_f32_e32 v1, v43, v1
	v_fmamk_f32 v43, v101, 0x3f6eb680, v106
	v_dual_mul_f32 v184, 0xbf7ee86f, v50 :: v_dual_mul_f32 v191, 0xbf7ee86f, v49
	v_dual_mul_f32 v166, 0xbf4c4adb, v37 :: v_dual_mul_f32 v173, 0xbf4c4adb, v36
	s_delay_alu instid0(VALU_DEP_3) | instskip(SKIP_1) | instid1(VALU_DEP_4)
	v_add_f32_e32 v43, v43, v1
	v_add_f32_e32 v1, v45, v41
	v_fma_f32 v186, 0x3dbcf732, v82, -v191
	v_mul_f32_e32 v188, 0xbf06c442, v36
	v_fma_f32 v161, 0xbf1a4643, v85, -v173
	v_add_f32_e32 v41, v46, v43
	v_fmamk_f32 v43, v84, 0x3dbcf732, v124
	v_fmamk_f32 v46, v71, 0xbf7ba420, v127
	v_mul_f32_e32 v157, 0x3f06c442, v38
	v_fma_f32 v181, 0xbf59a7d5, v85, -v188
	v_mul_f32_e32 v189, 0x3f65296c, v38
	v_add_f32_e32 v43, v43, v4
	v_mul_f32_e32 v120, 0x3f2c7751, v140
	v_dual_mul_f32 v146, 0xbf65296c, v138 :: v_dual_mul_f32 v151, 0xbf65296c, v81
	s_delay_alu instid0(VALU_DEP_4) | instskip(NEXT) | instid1(VALU_DEP_4)
	v_fma_f32 v185, 0x3ee437d1, v72, -v189
	v_add_f32_e32 v43, v46, v43
	s_delay_alu instid0(VALU_DEP_4) | instskip(SKIP_3) | instid1(VALU_DEP_4)
	v_fma_f32 v44, 0x3f3d2fb0, v100, -v120
	v_fma_f32 v46, 0xbe8c1d8e, v82, -v137
	v_mul_f32_e32 v194, 0xbeb8f4ab, v140
	v_dual_mul_f32 v169, 0xbf2c7751, v155 :: v_dual_mul_f32 v172, 0xbf2c7751, v154
	v_add_f32_e32 v42, v44, v42
	v_fma_f32 v44, 0x3f6eb680, v102, -v119
	s_delay_alu instid0(VALU_DEP_4)
	v_fma_f32 v195, 0x3f6eb680, v100, -v194
	v_mul_f32_e32 v170, 0xbeb8f4ab, v50
	v_mul_f32_e32 v150, 0xbeb8f4ab, v160
	;; [unrolled: 1-line block ×3, first 2 shown]
	v_add_f32_e32 v42, v44, v42
	v_fma_f32 v44, 0x3dbcf732, v104, -v121
	v_fmamk_f32 v165, v75, 0x3f6eb680, v170
	v_mul_f32_e32 v158, 0x3f2c7751, v49
	v_mul_f32_e32 v168, 0x3f7ee86f, v141
	s_delay_alu instid0(VALU_DEP_4) | instskip(SKIP_4) | instid1(VALU_DEP_4)
	v_dual_mul_f32 v183, 0x3f65296c, v39 :: v_dual_add_f32 v42, v44, v42
	v_fma_f32 v44, 0x3dbcf732, v85, -v135
	v_dual_add_f32 v181, v181, v5 :: v_dual_mul_f32 v178, 0x3f7ee86f, v140
	v_mul_f32_e32 v193, 0x3f4c4adb, v81
	v_mul_f32_e32 v202, 0xbf06c442, v49
	v_add_f32_e32 v44, v44, v5
	s_delay_alu instid0(VALU_DEP_4)
	v_add_f32_e32 v181, v185, v181
	v_mul_f32_e32 v185, 0x3f4c4adb, v138
	v_fma_f32 v190, 0xbf1a4643, v88, -v193
	v_mul_f32_e32 v138, 0x3f2c7751, v138
	v_dual_add_f32 v44, v47, v44 :: v_dual_fmamk_f32 v45, v112, 0xbf59a7d5, v114
	v_fma_f32 v47, 0xbf59a7d5, v113, -v122
	v_add_f32_e32 v181, v186, v181
	v_mul_f32_e32 v186, 0xbeb8f4ab, v141
	s_delay_alu instid0(VALU_DEP_4) | instskip(SKIP_4) | instid1(VALU_DEP_3)
	v_dual_add_f32 v44, v46, v44 :: v_dual_add_f32 v41, v45, v41
	v_fma_f32 v46, 0x3f6eb680, v88, -v134
	v_fmamk_f32 v45, v75, 0xbe8c1d8e, v123
	v_dual_add_f32 v42, v47, v42 :: v_dual_mul_f32 v147, 0xbe3c28d5, v141
	v_fmamk_f32 v192, v98, 0x3f6eb680, v186
	v_dual_add_f32 v44, v46, v44 :: v_dual_add_f32 v43, v45, v43
	v_fma_f32 v46, 0x3ee437d1, v100, -v130
	v_fmamk_f32 v45, v87, 0x3f6eb680, v125
	v_fmamk_f32 v179, v101, 0x3f3d2fb0, v169
	;; [unrolled: 1-line block ×3, first 2 shown]
	v_mul_f32_e32 v176, 0xbeb8f4ab, v49
	s_delay_alu instid0(VALU_DEP_4)
	v_dual_add_f32 v44, v46, v44 :: v_dual_add_f32 v43, v45, v43
	v_mul_f32_e32 v126, 0xbf65296c, v141
	v_fma_f32 v46, 0xbf59a7d5, v102, -v131
	v_mul_f32_e32 v167, 0x3f763a35, v39
	v_mul_f32_e32 v141, 0xbf4c4adb, v141
	;; [unrolled: 1-line block ×3, first 2 shown]
	v_fmamk_f32 v45, v98, 0x3ee437d1, v126
	v_add_f32_e32 v44, v46, v44
	v_fma_f32 v46, 0xbf1a4643, v104, -v133
	s_clause 0x1
	s_load_b64 s[4:5], s[0:1], 0x20
	s_load_b64 s[2:3], s[0:1], 0x8
	global_wb scope:SCOPE_SE
	v_add_f32_e32 v43, v45, v43
	v_dual_fmamk_f32 v45, v101, 0xbf59a7d5, v129 :: v_dual_add_f32 v44, v46, v44
	s_wait_kmcnt 0x0
	s_barrier_signal -1
	s_barrier_wait -1
	v_mul_f32_e32 v177, 0xbf06c442, v81
	v_add_f32_e32 v43, v45, v43
	v_fmamk_f32 v45, v103, 0xbf1a4643, v128
	v_mul_f32_e32 v142, 0xbf763a35, v37
	v_mul_f32_e32 v81, 0x3f2c7751, v81
	global_inv scope:SCOPE_SE
	v_add_f32_e32 v43, v45, v43
	s_delay_alu instid0(VALU_DEP_1) | instskip(SKIP_1) | instid1(VALU_DEP_1)
	v_add_f32_e32 v43, v139, v43
	v_mul_f32_e32 v139, 0x3f2c7751, v162
	v_fma_f32 v149, 0x3f3d2fb0, v113, -v139
	s_delay_alu instid0(VALU_DEP_1) | instskip(NEXT) | instid1(VALU_DEP_1)
	v_dual_fmamk_f32 v47, v84, 0xbe8c1d8e, v142 :: v_dual_add_f32 v44, v149, v44
	v_add_f32_e32 v45, v47, v4
	v_mul_f32_e32 v156, 0xbf763a35, v36
	v_mul_f32_e32 v149, 0xbf4c4adb, v163
	;; [unrolled: 1-line block ×3, first 2 shown]
	s_delay_alu instid0(VALU_DEP_3) | instskip(SKIP_1) | instid1(VALU_DEP_4)
	v_fma_f32 v47, 0xbe8c1d8e, v85, -v156
	v_mul_f32_e32 v143, 0x3f06c442, v39
	v_fmamk_f32 v164, v112, 0xbf1a4643, v149
	v_mul_f32_e32 v39, 0x3eb8f4ab, v39
	s_delay_alu instid0(VALU_DEP_3) | instskip(NEXT) | instid1(VALU_DEP_1)
	v_fmamk_f32 v46, v71, 0xbf59a7d5, v143
	v_add_f32_e32 v45, v46, v45
	v_add_f32_e32 v46, v47, v5
	v_fma_f32 v47, 0xbf59a7d5, v72, -v157
	s_delay_alu instid0(VALU_DEP_3) | instskip(NEXT) | instid1(VALU_DEP_2)
	v_dual_add_f32 v45, v48, v45 :: v_dual_fmamk_f32 v48, v87, 0x3ee437d1, v146
	v_add_f32_e32 v46, v47, v46
	v_fma_f32 v47, 0x3f3d2fb0, v82, -v158
	s_delay_alu instid0(VALU_DEP_3) | instskip(NEXT) | instid1(VALU_DEP_2)
	v_dual_add_f32 v45, v48, v45 :: v_dual_fmamk_f32 v48, v98, 0xbf7ba420, v147
	v_add_f32_e32 v46, v47, v46
	v_mul_f32_e32 v144, 0x3f7ee86f, v155
	v_fma_f32 v47, 0x3ee437d1, v88, -v151
	v_mul_f32_e32 v153, 0xbe3c28d5, v140
	v_dual_add_f32 v45, v48, v45 :: v_dual_mul_f32 v140, 0xbf4c4adb, v140
	s_delay_alu instid0(VALU_DEP_4) | instskip(NEXT) | instid1(VALU_DEP_4)
	v_fmamk_f32 v48, v101, 0x3dbcf732, v144
	v_add_f32_e32 v46, v47, v46
	s_delay_alu instid0(VALU_DEP_4) | instskip(NEXT) | instid1(VALU_DEP_3)
	v_fma_f32 v47, 0xbf7ba420, v100, -v153
	v_dual_mul_f32 v152, 0x3f7ee86f, v154 :: v_dual_add_f32 v45, v48, v45
	v_mul_f32_e32 v148, 0xbeb8f4ab, v159
	s_delay_alu instid0(VALU_DEP_3) | instskip(NEXT) | instid1(VALU_DEP_3)
	v_add_f32_e32 v46, v47, v46
	v_fma_f32 v47, 0x3dbcf732, v102, -v152
	s_delay_alu instid0(VALU_DEP_3) | instskip(NEXT) | instid1(VALU_DEP_1)
	v_fmamk_f32 v48, v103, 0x3f6eb680, v148
	v_add_f32_e32 v45, v48, v45
	v_fmamk_f32 v48, v84, 0xbf1a4643, v166
	s_delay_alu instid0(VALU_DEP_4) | instskip(SKIP_1) | instid1(VALU_DEP_4)
	v_add_f32_e32 v46, v47, v46
	v_fma_f32 v47, 0x3f6eb680, v104, -v150
	v_add_f32_e32 v45, v164, v45
	v_fma_f32 v164, 0x3f6eb680, v82, -v176
	s_delay_alu instid0(VALU_DEP_3) | instskip(SKIP_1) | instid1(VALU_DEP_1)
	v_dual_add_f32 v46, v47, v46 :: v_dual_add_f32 v47, v48, v4
	v_fmamk_f32 v48, v71, 0xbe8c1d8e, v167
	v_dual_add_f32 v47, v48, v47 :: v_dual_add_f32 v48, v161, v5
	s_delay_alu instid0(VALU_DEP_1) | instskip(SKIP_1) | instid1(VALU_DEP_1)
	v_add_f32_e32 v47, v165, v47
	v_fmamk_f32 v165, v87, 0xbf59a7d5, v171
	v_add_f32_e32 v47, v165, v47
	v_fmamk_f32 v165, v98, 0x3dbcf732, v168
	s_delay_alu instid0(VALU_DEP_1) | instskip(SKIP_1) | instid1(VALU_DEP_2)
	v_add_f32_e32 v47, v165, v47
	v_fma_f32 v165, 0x3dbcf732, v100, -v178
	v_dual_add_f32 v47, v179, v47 :: v_dual_mul_f32 v174, 0x3f763a35, v38
	v_mul_f32_e32 v38, 0x3eb8f4ab, v38
	v_fma_f32 v200, 0x3f6eb680, v71, -v39
	v_fmac_f32_e32 v39, 0x3f6eb680, v71
	s_delay_alu instid0(VALU_DEP_4) | instskip(NEXT) | instid1(VALU_DEP_4)
	v_fma_f32 v161, 0xbe8c1d8e, v72, -v174
	v_fmamk_f32 v201, v72, 0x3f6eb680, v38
	v_fma_f32 v38, 0x3f6eb680, v72, -v38
	s_delay_alu instid0(VALU_DEP_3) | instskip(NEXT) | instid1(VALU_DEP_1)
	v_add_f32_e32 v48, v161, v48
	v_add_f32_e32 v48, v164, v48
	v_fma_f32 v164, 0xbf59a7d5, v88, -v177
	s_delay_alu instid0(VALU_DEP_1) | instskip(SKIP_1) | instid1(VALU_DEP_2)
	v_add_f32_e32 v48, v164, v48
	v_mul_f32_e32 v164, 0xbe3c28d5, v159
	v_add_f32_e32 v48, v165, v48
	v_fma_f32 v165, 0x3f3d2fb0, v102, -v172
	s_delay_alu instid0(VALU_DEP_1) | instskip(NEXT) | instid1(VALU_DEP_1)
	v_dual_mul_f32 v161, 0xbf4c4adb, v162 :: v_dual_add_f32 v48, v165, v48
	v_fma_f32 v175, 0xbf1a4643, v113, -v161
	s_delay_alu instid0(VALU_DEP_1) | instskip(NEXT) | instid1(VALU_DEP_1)
	v_dual_add_f32 v46, v175, v46 :: v_dual_mul_f32 v175, 0xbe3c28d5, v160
	v_fma_f32 v165, 0xbf7ba420, v104, -v175
	s_delay_alu instid0(VALU_DEP_1) | instskip(SKIP_1) | instid1(VALU_DEP_2)
	v_dual_fmamk_f32 v179, v103, 0xbf7ba420, v164 :: v_dual_add_f32 v48, v165, v48
	v_mul_f32_e32 v165, 0x3f65296c, v163
	v_add_f32_e32 v47, v179, v47
	s_delay_alu instid0(VALU_DEP_2) | instskip(SKIP_2) | instid1(VALU_DEP_3)
	v_fmamk_f32 v187, v112, 0x3ee437d1, v165
	v_mul_f32_e32 v180, 0xbf06c442, v37
	v_mul_f32_e32 v37, 0xbe3c28d5, v37
	v_add_f32_e32 v47, v187, v47
	s_delay_alu instid0(VALU_DEP_3) | instskip(SKIP_3) | instid1(VALU_DEP_4)
	v_fmamk_f32 v179, v84, 0xbf59a7d5, v180
	v_add_f32_e32 v187, v190, v181
	v_dual_mul_f32 v181, 0xbe3c28d5, v155 :: v_dual_mul_f32 v190, 0xbe3c28d5, v154
	v_dual_mul_f32 v155, 0x3f65296c, v155 :: v_dual_mul_f32 v154, 0x3f65296c, v154
	v_add_f32_e32 v179, v179, v4
	s_delay_alu instid0(VALU_DEP_4) | instskip(NEXT) | instid1(VALU_DEP_4)
	v_add_f32_e32 v187, v195, v187
	v_fma_f32 v197, 0xbf7ba420, v102, -v190
	v_fmamk_f32 v195, v101, 0xbf7ba420, v181
	s_delay_alu instid0(VALU_DEP_4) | instskip(NEXT) | instid1(VALU_DEP_3)
	v_dual_add_f32 v179, v182, v179 :: v_dual_fmamk_f32 v182, v75, 0x3dbcf732, v184
	v_add_f32_e32 v187, v197, v187
	s_delay_alu instid0(VALU_DEP_2) | instskip(NEXT) | instid1(VALU_DEP_1)
	v_dual_add_f32 v179, v182, v179 :: v_dual_fmamk_f32 v182, v87, 0xbf1a4643, v185
	v_dual_add_f32 v182, v182, v179 :: v_dual_mul_f32 v179, 0x3f65296c, v162
	s_delay_alu instid0(VALU_DEP_1) | instskip(SKIP_2) | instid1(VALU_DEP_4)
	v_add_f32_e32 v196, v192, v182
	v_mul_f32_e32 v182, 0x3f2c7751, v159
	v_mul_f32_e32 v192, 0x3f2c7751, v160
	v_fma_f32 v198, 0x3ee437d1, v113, -v179
	s_delay_alu instid0(VALU_DEP_4) | instskip(NEXT) | instid1(VALU_DEP_4)
	v_add_f32_e32 v195, v195, v196
	v_fmamk_f32 v196, v103, 0x3f3d2fb0, v182
	s_delay_alu instid0(VALU_DEP_4) | instskip(NEXT) | instid1(VALU_DEP_2)
	v_fma_f32 v197, 0x3f3d2fb0, v104, -v192
	v_dual_add_f32 v48, v198, v48 :: v_dual_add_f32 v195, v196, v195
	s_delay_alu instid0(VALU_DEP_2) | instskip(SKIP_2) | instid1(VALU_DEP_2)
	v_add_f32_e32 v196, v197, v187
	v_fma_f32 v197, 0xbf7ba420, v84, -v37
	v_fmac_f32_e32 v37, 0xbf7ba420, v84
	v_add_f32_e32 v197, v197, v4
	s_delay_alu instid0(VALU_DEP_2) | instskip(NEXT) | instid1(VALU_DEP_2)
	v_add_f32_e32 v37, v37, v4
	v_dual_add_f32 v197, v200, v197 :: v_dual_fmamk_f32 v198, v85, 0xbf7ba420, v36
	v_fmamk_f32 v200, v82, 0xbf59a7d5, v202
	v_fma_f32 v36, 0xbf7ba420, v85, -v36
	s_delay_alu instid0(VALU_DEP_4) | instskip(NEXT) | instid1(VALU_DEP_4)
	v_add_f32_e32 v37, v39, v37
	v_add_f32_e32 v198, v198, v5
	s_delay_alu instid0(VALU_DEP_3) | instskip(NEXT) | instid1(VALU_DEP_2)
	v_add_f32_e32 v36, v36, v5
	v_add_f32_e32 v198, v201, v198
	s_delay_alu instid0(VALU_DEP_2) | instskip(SKIP_1) | instid1(VALU_DEP_3)
	v_add_f32_e32 v36, v38, v36
	v_fma_f32 v38, 0xbf59a7d5, v82, -v202
	v_add_f32_e32 v198, v200, v198
	v_fmamk_f32 v200, v88, 0x3f3d2fb0, v81
	s_delay_alu instid0(VALU_DEP_3) | instskip(SKIP_1) | instid1(VALU_DEP_3)
	v_add_f32_e32 v36, v38, v36
	v_fma_f32 v38, 0x3f3d2fb0, v88, -v81
	v_add_f32_e32 v198, v200, v198
	v_fmamk_f32 v200, v100, 0xbf1a4643, v140
	s_delay_alu instid0(VALU_DEP_3) | instskip(SKIP_2) | instid1(VALU_DEP_4)
	v_dual_mul_f32 v187, 0xbf763a35, v163 :: v_dual_add_f32 v36, v38, v36
	v_fma_f32 v38, 0xbf1a4643, v100, -v140
	v_mul_f32_e32 v140, 0x3f7ee86f, v163
	v_add_f32_e32 v198, v200, v198
	s_delay_alu instid0(VALU_DEP_4)
	v_fmamk_f32 v199, v112, 0xbe8c1d8e, v187
	v_fmamk_f32 v200, v102, 0x3ee437d1, v154
	v_add_f32_e32 v36, v38, v36
	v_fma_f32 v38, 0x3ee437d1, v102, -v154
	v_mul_f32_e32 v39, 0xbf763a35, v159
	v_add_f32_e32 v49, v199, v195
	v_fma_f32 v199, 0xbf59a7d5, v75, -v50
	s_delay_alu instid0(VALU_DEP_4) | instskip(NEXT) | instid1(VALU_DEP_2)
	v_dual_mul_f32 v195, 0xbf763a35, v162 :: v_dual_add_f32 v36, v38, v36
	v_dual_add_f32 v198, v200, v198 :: v_dual_add_f32 v197, v199, v197
	v_fma_f32 v199, 0x3f3d2fb0, v87, -v138
	s_delay_alu instid0(VALU_DEP_3) | instskip(NEXT) | instid1(VALU_DEP_2)
	v_fma_f32 v201, 0xbe8c1d8e, v113, -v195
	v_add_f32_e32 v197, v199, v197
	v_fma_f32 v199, 0xbf1a4643, v98, -v141
	v_fmac_f32_e32 v141, 0xbf1a4643, v98
	s_delay_alu instid0(VALU_DEP_2) | instskip(SKIP_1) | instid1(VALU_DEP_1)
	v_add_f32_e32 v197, v199, v197
	v_fma_f32 v199, 0x3ee437d1, v101, -v155
	v_dual_add_f32 v197, v199, v197 :: v_dual_fmac_f32 v138, 0x3f3d2fb0, v87
	v_fmac_f32_e32 v50, 0xbf59a7d5, v75
	s_delay_alu instid0(VALU_DEP_1) | instskip(SKIP_2) | instid1(VALU_DEP_2)
	v_add_f32_e32 v37, v50, v37
	v_fma_f32 v50, 0xbe8c1d8e, v103, -v39
	v_fmac_f32_e32 v39, 0xbe8c1d8e, v103
	v_add_f32_e32 v81, v50, v197
	s_delay_alu instid0(VALU_DEP_4) | instskip(NEXT) | instid1(VALU_DEP_1)
	v_add_f32_e32 v37, v138, v37
	v_add_f32_e32 v37, v141, v37
	v_fma_f32 v141, 0x3dbcf732, v112, -v140
	v_mul_f32_e32 v159, 0xbf763a35, v160
	v_fmac_f32_e32 v140, 0x3dbcf732, v112
	v_fmac_f32_e32 v155, 0x3ee437d1, v101
	v_mul_f32_e32 v50, 0x3f7ee86f, v162
	s_delay_alu instid0(VALU_DEP_4) | instskip(NEXT) | instid1(VALU_DEP_2)
	v_fma_f32 v38, 0xbe8c1d8e, v104, -v159
	v_dual_add_f32 v37, v155, v37 :: v_dual_fmamk_f32 v154, v113, 0x3dbcf732, v50
	s_delay_alu instid0(VALU_DEP_2) | instskip(NEXT) | instid1(VALU_DEP_2)
	v_dual_add_f32 v155, v38, v36 :: v_dual_add_f32 v36, v141, v81
	v_dual_add_f32 v39, v39, v37 :: v_dual_fmamk_f32 v160, v104, 0xbe8c1d8e, v159
	v_fma_f32 v159, 0x3dbcf732, v113, -v50
	v_add_f32_e32 v50, v201, v196
	v_mul_lo_u16 v81, v79, 17
	s_delay_alu instid0(VALU_DEP_4) | instskip(NEXT) | instid1(VALU_DEP_1)
	v_add_f32_e32 v138, v160, v198
	v_dual_add_f32 v37, v154, v138 :: v_dual_add_f32 v38, v140, v39
	v_add_f32_e32 v39, v159, v155
	s_and_saveexec_b32 s0, vcc_lo
	s_cbranch_execz .LBB0_7
; %bb.6:
	v_dual_mul_f32 v199, 0xbf59a7d5, v84 :: v_dual_mul_f32 v200, 0xbf59a7d5, v85
	v_mul_f32_e32 v159, 0x3ee437d1, v85
	v_dual_mul_f32 v141, 0x3f3d2fb0, v84 :: v_dual_mul_f32 v154, 0x3f3d2fb0, v85
	v_dual_mul_f32 v160, 0x3dbcf732, v84 :: v_dual_mul_f32 v201, 0x3dbcf732, v71
	s_delay_alu instid0(VALU_DEP_4) | instskip(SKIP_4) | instid1(VALU_DEP_4)
	v_add_f32_e32 v188, v188, v200
	v_mul_f32_e32 v200, 0x3ee437d1, v72
	v_mul_f32_e32 v140, 0x3f6eb680, v85
	;; [unrolled: 1-line block ×3, first 2 shown]
	v_dual_mul_f32 v163, 0xbe8c1d8e, v84 :: v_dual_mul_f32 v196, 0xbe8c1d8e, v85
	v_dual_add_f32 v188, v188, v5 :: v_dual_add_f32 v189, v189, v200
	v_mul_f32_e32 v200, 0x3dbcf732, v82
	v_mul_f32_e32 v162, 0x3dbcf732, v85
	v_dual_mul_f32 v211, 0xbf1a4643, v75 :: v_dual_mul_f32 v212, 0xbf1a4643, v82
	s_delay_alu instid0(VALU_DEP_4) | instskip(NEXT) | instid1(VALU_DEP_4)
	v_add_f32_e32 v188, v189, v188
	v_add_f32_e32 v189, v191, v200
	v_mul_f32_e32 v191, 0xbf1a4643, v88
	v_mul_f32_e32 v138, 0x3f6eb680, v84
	v_dual_mul_f32 v197, 0xbf1a4643, v84 :: v_dual_mul_f32 v198, 0xbf1a4643, v85
	s_delay_alu instid0(VALU_DEP_4) | instskip(NEXT) | instid1(VALU_DEP_4)
	v_add_f32_e32 v188, v189, v188
	v_add_f32_e32 v189, v193, v191
	v_mul_f32_e32 v193, 0xbf7ba420, v75
	v_mul_f32_e32 v191, 0x3f6eb680, v100
	v_dual_mul_f32 v84, 0x3f3d2fb0, v71 :: v_dual_mul_f32 v85, 0x3f3d2fb0, v72
	v_mul_f32_e32 v202, 0x3dbcf732, v72
	v_dual_mul_f32 v203, 0xbf1a4643, v71 :: v_dual_mul_f32 v204, 0xbf1a4643, v72
	v_dual_mul_f32 v205, 0xbf7ba420, v71 :: v_dual_mul_f32 v206, 0xbf7ba420, v72
	;; [unrolled: 1-line block ×4, first 2 shown]
	v_mul_f32_e32 v71, 0x3ee437d1, v71
	v_dual_mul_f32 v213, 0xbf7ba420, v82 :: v_dual_add_f32 v188, v189, v188
	v_dual_add_f32 v189, v194, v191 :: v_dual_sub_f32 v180, v199, v180
	v_dual_mul_f32 v214, 0xbe8c1d8e, v75 :: v_dual_mul_f32 v191, 0xbe8c1d8e, v82
	v_dual_mul_f32 v194, 0x3f3d2fb0, v75 :: v_dual_mul_f32 v199, 0x3f3d2fb0, v82
	s_delay_alu instid0(VALU_DEP_3)
	v_dual_add_f32 v188, v189, v188 :: v_dual_mul_f32 v189, 0xbf7ba420, v102
	v_mul_f32_e32 v210, 0x3ee437d1, v75
	v_sub_f32_e32 v71, v71, v183
	v_dual_mul_f32 v183, 0x3f6eb680, v75 :: v_dual_add_f32 v180, v180, v4
	v_mul_f32_e32 v75, 0x3dbcf732, v75
	v_dual_mul_f32 v200, 0x3ee437d1, v82 :: v_dual_add_f32 v189, v190, v189
	s_delay_alu instid0(VALU_DEP_3) | instskip(NEXT) | instid1(VALU_DEP_3)
	v_dual_mul_f32 v190, 0x3dbcf732, v87 :: v_dual_add_f32 v71, v71, v180
	v_sub_f32_e32 v75, v75, v184
	v_mul_f32_e32 v180, 0x3f3d2fb0, v104
	v_mul_f32_e32 v184, 0xbf1a4643, v87
	v_add_f32_e32 v188, v189, v188
	v_add_f32_e32 v173, v173, v198
	s_delay_alu instid0(VALU_DEP_4) | instskip(NEXT) | instid1(VALU_DEP_4)
	v_dual_add_f32 v71, v75, v71 :: v_dual_add_f32 v180, v192, v180
	v_dual_mul_f32 v192, 0xbf7ba420, v87 :: v_dual_sub_f32 v75, v184, v185
	v_mul_f32_e32 v185, 0x3f6eb680, v98
	v_mul_f32_e32 v184, 0xbf7ba420, v88
	s_delay_alu instid0(VALU_DEP_4) | instskip(NEXT) | instid1(VALU_DEP_4)
	v_dual_add_f32 v180, v180, v188 :: v_dual_mul_f32 v215, 0xbe8c1d8e, v87
	v_dual_mul_f32 v188, 0xbe8c1d8e, v113 :: v_dual_add_f32 v71, v75, v71
	s_delay_alu instid0(VALU_DEP_4) | instskip(SKIP_2) | instid1(VALU_DEP_4)
	v_sub_f32_e32 v75, v185, v186
	v_mul_f32_e32 v185, 0xbe8c1d8e, v88
	v_add_f32_e32 v72, v174, v72
	v_dual_add_f32 v186, v195, v188 :: v_dual_mul_f32 v195, 0xbf7ba420, v101
	v_dual_mul_f32 v188, 0x3f6eb680, v87 :: v_dual_add_f32 v173, v173, v5
	v_mul_f32_e32 v82, 0x3f6eb680, v82
	s_delay_alu instid0(VALU_DEP_3)
	v_dual_mul_f32 v189, 0x3dbcf732, v88 :: v_dual_sub_f32 v174, v195, v181
	v_dual_add_f32 v71, v75, v71 :: v_dual_mul_f32 v198, 0x3f6eb680, v88
	v_mul_f32_e32 v75, 0x3ee437d1, v87
	v_dual_mul_f32 v181, 0x3ee437d1, v88 :: v_dual_add_f32 v72, v72, v173
	v_dual_mul_f32 v173, 0x3f3d2fb0, v103 :: v_dual_add_f32 v82, v176, v82
	v_dual_mul_f32 v87, 0xbf59a7d5, v87 :: v_dual_mul_f32 v88, 0xbf59a7d5, v88
	v_dual_mul_f32 v176, 0xbe8c1d8e, v98 :: v_dual_add_f32 v71, v174, v71
	s_delay_alu instid0(VALU_DEP_3) | instskip(NEXT) | instid1(VALU_DEP_4)
	v_dual_mul_f32 v174, 0xbe8c1d8e, v100 :: v_dual_sub_f32 v173, v173, v182
	v_add_f32_e32 v72, v82, v72
	s_delay_alu instid0(VALU_DEP_4) | instskip(SKIP_1) | instid1(VALU_DEP_4)
	v_add_f32_e32 v88, v177, v88
	v_dual_mul_f32 v195, 0x3f3d2fb0, v100 :: v_dual_sub_f32 v166, v197, v166
	v_add_f32_e32 v71, v173, v71
	v_mul_f32_e32 v173, 0x3dbcf732, v100
	v_dual_mul_f32 v82, 0xbe8c1d8e, v112 :: v_dual_sub_f32 v167, v209, v167
	s_delay_alu instid0(VALU_DEP_4) | instskip(SKIP_1) | instid1(VALU_DEP_4)
	v_add_f32_e32 v166, v166, v4
	v_dual_mul_f32 v182, 0xbf59a7d5, v98 :: v_dual_mul_f32 v177, 0xbf59a7d5, v100
	v_add_f32_e32 v173, v178, v173
	s_delay_alu instid0(VALU_DEP_4) | instskip(SKIP_2) | instid1(VALU_DEP_3)
	v_dual_sub_f32 v82, v82, v187 :: v_dual_mul_f32 v187, 0x3f3d2fb0, v98
	v_add_f32_e32 v88, v88, v72
	v_add_f32_e32 v72, v186, v180
	v_dual_mul_f32 v178, 0x3ee437d1, v98 :: v_dual_add_f32 v71, v82, v71
	v_mul_f32_e32 v180, 0xbf7ba420, v98
	s_delay_alu instid0(VALU_DEP_4) | instskip(SKIP_4) | instid1(VALU_DEP_4)
	v_dual_add_f32 v88, v173, v88 :: v_dual_mul_f32 v197, 0xbf1a4643, v102
	v_mul_f32_e32 v173, 0x3f3d2fb0, v102
	v_add_f32_e32 v166, v167, v166
	v_sub_f32_e32 v167, v183, v170
	v_dual_mul_f32 v98, 0x3dbcf732, v98 :: v_dual_sub_f32 v87, v87, v171
	v_dual_add_f32 v172, v172, v173 :: v_dual_mul_f32 v173, 0xbf7ba420, v104
	v_mul_f32_e32 v82, 0x3ee437d1, v100
	v_mul_f32_e32 v100, 0xbf7ba420, v100
	v_dual_add_f32 v166, v167, v166 :: v_dual_mul_f32 v167, 0xbf59a7d5, v101
	s_delay_alu instid0(VALU_DEP_4) | instskip(SKIP_4) | instid1(VALU_DEP_4)
	v_add_f32_e32 v173, v175, v173
	v_dual_mul_f32 v175, 0xbe8c1d8e, v102 :: v_dual_add_f32 v88, v172, v88
	v_dual_mul_f32 v172, 0xbe8c1d8e, v101 :: v_dual_add_f32 v157, v157, v208
	v_add_f32_e32 v156, v156, v196
	v_dual_sub_f32 v98, v98, v168 :: v_dual_mul_f32 v209, 0x3dbcf732, v103
	v_dual_add_f32 v88, v173, v88 :: v_dual_mul_f32 v171, 0xbf59a7d5, v102
	v_mul_f32_e32 v173, 0x3ee437d1, v113
	s_delay_alu instid0(VALU_DEP_4) | instskip(SKIP_2) | instid1(VALU_DEP_4)
	v_add_f32_e32 v156, v156, v5
	v_sub_f32_e32 v142, v163, v142
	v_dual_mul_f32 v196, 0xbf59a7d5, v104 :: v_dual_sub_f32 v143, v207, v143
	v_add_f32_e32 v173, v179, v173
	v_mul_f32_e32 v179, 0x3dbcf732, v101
	v_dual_mul_f32 v186, 0xbf1a4643, v101 :: v_dual_add_f32 v87, v87, v166
	v_mul_f32_e32 v170, 0x3f6eb680, v101
	v_mul_f32_e32 v101, 0x3f3d2fb0, v101
	v_dual_mul_f32 v166, 0xbf59a7d5, v103 :: v_dual_add_f32 v151, v151, v181
	v_dual_mul_f32 v168, 0x3ee437d1, v103 :: v_dual_sub_f32 v145, v194, v145
	s_delay_alu instid0(VALU_DEP_3)
	v_dual_add_f32 v87, v98, v87 :: v_dual_sub_f32 v98, v101, v169
	v_mul_f32_e32 v101, 0x3dbcf732, v104
	v_dual_add_f32 v156, v157, v156 :: v_dual_mul_f32 v163, 0x3f6eb680, v103
	v_mul_f32_e32 v157, 0xbf1a4643, v103
	v_dual_add_f32 v158, v158, v199 :: v_dual_mul_f32 v169, 0xbf1a4643, v104
	v_dual_mul_f32 v103, 0xbf7ba420, v103 :: v_dual_add_f32 v142, v142, v4
	v_mul_f32_e32 v181, 0x3f6eb680, v112
	s_delay_alu instid0(VALU_DEP_3) | instskip(SKIP_1) | instid1(VALU_DEP_4)
	v_dual_add_f32 v156, v158, v156 :: v_dual_mul_f32 v183, 0x3f6eb680, v102
	v_mul_f32_e32 v102, 0x3dbcf732, v102
	v_add_f32_e32 v142, v143, v142
	v_dual_mul_f32 v208, 0x3ee437d1, v104 :: v_dual_add_f32 v87, v98, v87
	s_delay_alu instid0(VALU_DEP_4) | instskip(SKIP_1) | instid1(VALU_DEP_4)
	v_dual_add_f32 v151, v151, v156 :: v_dual_mul_f32 v156, 0xbf59a7d5, v113
	v_add_f32_e32 v100, v153, v100
	v_dual_mul_f32 v153, 0x3f3d2fb0, v112 :: v_dual_add_f32 v142, v145, v142
	v_dual_sub_f32 v146, v75, v146 :: v_dual_mul_f32 v207, 0xbf1a4643, v112
	s_delay_alu instid0(VALU_DEP_3) | instskip(SKIP_4) | instid1(VALU_DEP_4)
	v_dual_add_f32 v75, v173, v88 :: v_dual_add_f32 v98, v100, v151
	v_sub_f32_e32 v88, v103, v164
	v_dual_mul_f32 v194, 0xbf59a7d5, v112 :: v_dual_sub_f32 v103, v180, v147
	v_add_f32_e32 v100, v152, v102
	v_add_f32_e32 v102, v146, v142
	v_dual_add_f32 v142, v88, v87 :: v_dual_add_f32 v87, v135, v162
	v_dual_mul_f32 v199, 0xbf7ba420, v112 :: v_dual_mul_f32 v158, 0xbf7ba420, v113
	v_mul_f32_e32 v112, 0x3ee437d1, v112
	v_add_f32_e32 v88, v100, v98
	v_add_f32_e32 v100, v103, v102
	;; [unrolled: 1-line block ×3, first 2 shown]
	v_dual_add_f32 v103, v136, v206 :: v_dual_mul_f32 v104, 0x3f6eb680, v104
	v_mul_f32_e32 v143, 0x3f6eb680, v113
	v_mul_f32_e32 v145, 0x3f3d2fb0, v113
	;; [unrolled: 1-line block ×3, first 2 shown]
	s_delay_alu instid0(VALU_DEP_4) | instskip(SKIP_3) | instid1(VALU_DEP_3)
	v_add_f32_e32 v87, v103, v87
	v_dual_add_f32 v103, v137, v191 :: v_dual_add_f32 v98, v150, v104
	v_sub_f32_e32 v104, v112, v165
	v_dual_sub_f32 v112, v160, v124 :: v_dual_sub_f32 v107, v155, v107
	v_add_f32_e32 v87, v103, v87
	v_dual_sub_f32 v102, v179, v144 :: v_dual_sub_f32 v103, v205, v127
	v_add_f32_e32 v88, v98, v88
	v_dual_add_f32 v98, v161, v113 :: v_dual_add_f32 v113, v115, v159
	s_delay_alu instid0(VALU_DEP_3) | instskip(SKIP_1) | instid1(VALU_DEP_3)
	v_add_f32_e32 v100, v102, v100
	v_dual_sub_f32 v102, v163, v148 :: v_dual_add_f32 v115, v133, v169
	v_add_f32_e32 v88, v98, v88
	v_dual_add_f32 v82, v130, v82 :: v_dual_add_f32 v107, v107, v4
	s_delay_alu instid0(VALU_DEP_3) | instskip(SKIP_3) | instid1(VALU_DEP_3)
	v_add_f32_e32 v98, v102, v100
	v_add_f32_e32 v100, v134, v198
	v_dual_add_f32 v102, v112, v4 :: v_dual_add_f32 v101, v121, v101
	v_sub_f32_e32 v112, v207, v149
	v_dual_add_f32 v94, v94, v154 :: v_dual_add_f32 v87, v100, v87
	s_delay_alu instid0(VALU_DEP_3) | instskip(SKIP_1) | instid1(VALU_DEP_3)
	v_add_f32_e32 v100, v103, v102
	v_dual_sub_f32 v102, v214, v123 :: v_dual_add_f32 v103, v113, v5
	v_dual_add_f32 v113, v116, v204 :: v_dual_add_f32 v82, v82, v87
	s_delay_alu instid0(VALU_DEP_2) | instskip(NEXT) | instid1(VALU_DEP_2)
	v_dual_add_f32 v87, v131, v171 :: v_dual_add_f32 v100, v102, v100
	v_dual_sub_f32 v102, v188, v125 :: v_dual_add_f32 v103, v113, v103
	s_delay_alu instid0(VALU_DEP_2) | instskip(NEXT) | instid1(VALU_DEP_2)
	v_dual_add_f32 v113, v117, v213 :: v_dual_add_f32 v82, v87, v82
	v_dual_add_f32 v87, v112, v98 :: v_dual_add_f32 v100, v102, v100
	v_dual_sub_f32 v102, v178, v126 :: v_dual_sub_f32 v59, v141, v59
	s_delay_alu instid0(VALU_DEP_3) | instskip(NEXT) | instid1(VALU_DEP_4)
	v_add_f32_e32 v103, v113, v103
	v_dual_add_f32 v113, v118, v185 :: v_dual_add_f32 v82, v115, v82
	s_delay_alu instid0(VALU_DEP_3) | instskip(SKIP_1) | instid1(VALU_DEP_3)
	v_dual_sub_f32 v83, v201, v83 :: v_dual_add_f32 v98, v102, v100
	v_sub_f32_e32 v100, v167, v129
	v_dual_add_f32 v102, v113, v103 :: v_dual_add_f32 v59, v59, v4
	v_dual_add_f32 v103, v120, v195 :: v_dual_add_f32 v112, v139, v145
	s_delay_alu instid0(VALU_DEP_3) | instskip(NEXT) | instid1(VALU_DEP_3)
	v_dual_add_f32 v93, v93, v184 :: v_dual_add_f32 v100, v100, v98
	v_add_f32_e32 v59, v83, v59
	s_delay_alu instid0(VALU_DEP_3) | instskip(SKIP_3) | instid1(VALU_DEP_4)
	v_dual_sub_f32 v113, v157, v128 :: v_dual_add_f32 v102, v103, v102
	v_add_f32_e32 v103, v119, v183
	v_sub_f32_e32 v110, v203, v110
	v_dual_add_f32 v98, v112, v82 :: v_dual_sub_f32 v83, v211, v89
	v_add_f32_e32 v82, v113, v100
	s_delay_alu instid0(VALU_DEP_4) | instskip(NEXT) | instid1(VALU_DEP_4)
	v_add_f32_e32 v100, v103, v102
	v_add_f32_e32 v102, v110, v107
	v_dual_sub_f32 v103, v193, v111 :: v_dual_add_f32 v96, v96, v202
	v_add_f32_e32 v7, v7, v5
	v_add_f32_e32 v59, v83, v59
	v_sub_f32_e32 v83, v192, v90
	s_delay_alu instid0(VALU_DEP_4) | instskip(SKIP_3) | instid1(VALU_DEP_2)
	v_add_f32_e32 v102, v103, v102
	v_sub_f32_e32 v103, v215, v109
	v_dual_add_f32 v109, v94, v5 :: v_dual_add_f32 v92, v92, v212
	v_dual_add_f32 v6, v6, v4 :: v_dual_add_f32 v7, v29, v7
	;; [unrolled: 1-line block ×3, first 2 shown]
	s_delay_alu instid0(VALU_DEP_2) | instskip(SKIP_1) | instid1(VALU_DEP_3)
	v_dual_sub_f32 v83, v182, v91 :: v_dual_add_f32 v6, v28, v6
	v_dual_sub_f32 v28, v172, v73 :: v_dual_add_f32 v73, v99, v143
	v_dual_add_f32 v92, v92, v96 :: v_dual_add_f32 v7, v31, v7
	v_sub_f32_e32 v90, v194, v114
	s_delay_alu instid0(VALU_DEP_4) | instskip(SKIP_1) | instid1(VALU_DEP_4)
	v_dual_add_f32 v6, v30, v6 :: v_dual_add_f32 v59, v83, v59
	v_sub_f32_e32 v107, v153, v132
	v_add_f32_e32 v7, v25, v7
	v_dual_add_f32 v92, v93, v92 :: v_dual_add_f32 v93, v95, v177
	s_delay_alu instid0(VALU_DEP_2) | instskip(SKIP_1) | instid1(VALU_DEP_3)
	v_dual_sub_f32 v96, v209, v108 :: v_dual_add_f32 v7, v27, v7
	v_add_f32_e32 v76, v76, v208
	v_dual_add_f32 v92, v93, v92 :: v_dual_sub_f32 v27, v138, v53
	v_add_f32_e32 v93, v97, v175
	s_delay_alu instid0(VALU_DEP_4) | instskip(SKIP_3) | instid1(VALU_DEP_4)
	v_add_f32_e32 v7, v33, v7
	v_add_f32_e32 v100, v101, v100
	;; [unrolled: 1-line block ×3, first 2 shown]
	v_dual_add_f32 v4, v27, v4 :: v_dual_sub_f32 v27, v84, v55
	v_dual_add_f32 v7, v35, v7 :: v_dual_sub_f32 v30, v168, v74
	s_delay_alu instid0(VALU_DEP_3) | instskip(SKIP_2) | instid1(VALU_DEP_4)
	v_add_f32_e32 v94, v101, v100
	v_add_f32_e32 v28, v28, v59
	v_dual_add_f32 v100, v103, v102 :: v_dual_add_f32 v91, v93, v92
	v_dual_add_f32 v7, v21, v7 :: v_dual_add_f32 v24, v24, v6
	v_sub_f32_e32 v21, v210, v57
	s_delay_alu instid0(VALU_DEP_4) | instskip(SKIP_1) | instid1(VALU_DEP_4)
	v_add_f32_e32 v25, v30, v28
	v_sub_f32_e32 v101, v187, v105
	v_dual_add_f32 v7, v23, v7 :: v_dual_add_f32 v24, v26, v24
	v_add_f32_e32 v29, v76, v91
	s_delay_alu instid0(VALU_DEP_3) | instskip(NEXT) | instid1(VALU_DEP_3)
	v_dual_add_f32 v97, v107, v82 :: v_dual_add_f32 v100, v101, v100
	v_dual_add_f32 v7, v17, v7 :: v_dual_add_f32 v24, v32, v24
	;; [unrolled: 1-line block ×3, first 2 shown]
	s_delay_alu instid0(VALU_DEP_2) | instskip(NEXT) | instid1(VALU_DEP_3)
	v_dual_add_f32 v6, v73, v29 :: v_dual_add_f32 v7, v19, v7
	v_add_f32_e32 v24, v34, v24
	v_sub_f32_e32 v101, v170, v106
	s_delay_alu instid0(VALU_DEP_3) | instskip(NEXT) | instid1(VALU_DEP_3)
	v_dual_add_f32 v74, v104, v142 :: v_dual_add_f32 v7, v13, v7
	v_dual_add_f32 v20, v20, v24 :: v_dual_sub_f32 v13, v186, v65
	v_add_f32_e32 v24, v62, v189
	s_delay_alu instid0(VALU_DEP_3) | instskip(SKIP_1) | instid1(VALU_DEP_2)
	v_dual_add_f32 v28, v54, v140 :: v_dual_add_f32 v7, v15, v7
	v_add_f32_e32 v89, v101, v100
	v_add_f32_e32 v5, v28, v5
	s_delay_alu instid0(VALU_DEP_3) | instskip(SKIP_1) | instid1(VALU_DEP_4)
	v_dual_add_f32 v28, v56, v85 :: v_dual_add_f32 v7, v9, v7
	v_add_f32_e32 v9, v70, v158
	v_add_f32_e32 v89, v96, v89
	s_delay_alu instid0(VALU_DEP_3) | instskip(NEXT) | instid1(VALU_DEP_4)
	v_dual_add_f32 v5, v28, v5 :: v_dual_add_f32 v28, v58, v200
	v_dual_sub_f32 v26, v181, v86 :: v_dual_add_f32 v11, v11, v7
	s_delay_alu instid0(VALU_DEP_3) | instskip(NEXT) | instid1(VALU_DEP_3)
	v_add_f32_e32 v93, v90, v89
	v_add_f32_e32 v5, v28, v5
	s_delay_alu instid0(VALU_DEP_1) | instskip(NEXT) | instid1(VALU_DEP_1)
	v_add_f32_e32 v5, v24, v5
	v_add_f32_e32 v5, v17, v5
	;; [unrolled: 1-line block ×5, first 2 shown]
	v_sub_f32_e32 v21, v190, v60
	s_delay_alu instid0(VALU_DEP_3) | instskip(SKIP_1) | instid1(VALU_DEP_2)
	v_dual_add_f32 v5, v17, v5 :: v_dual_add_f32 v16, v16, v20
	v_sub_f32_e32 v20, v176, v63
	v_add_f32_e32 v16, v18, v16
	s_delay_alu instid0(VALU_DEP_1) | instskip(SKIP_2) | instid1(VALU_DEP_2)
	v_add_f32_e32 v12, v12, v16
	v_add_f32_e32 v16, v68, v196
	;; [unrolled: 1-line block ×3, first 2 shown]
	v_dual_add_f32 v12, v14, v12 :: v_dual_add_f32 v5, v16, v5
	s_delay_alu instid0(VALU_DEP_2) | instskip(NEXT) | instid1(VALU_DEP_2)
	v_add_f32_e32 v4, v20, v4
	v_add_f32_e32 v8, v8, v12
	v_sub_f32_e32 v12, v199, v69
	s_delay_alu instid0(VALU_DEP_3) | instskip(NEXT) | instid1(VALU_DEP_1)
	v_dual_add_f32 v4, v13, v4 :: v_dual_sub_f32 v13, v166, v67
	v_add_f32_e32 v4, v13, v4
	s_delay_alu instid0(VALU_DEP_4) | instskip(SKIP_2) | instid1(VALU_DEP_4)
	v_dual_add_f32 v13, v10, v8 :: v_dual_and_b32 v14, 0xffff, v81
	v_add_f32_e32 v8, v9, v5
	v_add_f32_e32 v10, v52, v11
	v_add_f32_e32 v7, v12, v4
	s_delay_alu instid0(VALU_DEP_4)
	v_add_f32_e32 v9, v51, v13
	v_add_lshl_u32 v4, v61, v14, 3
	v_add_f32_e32 v5, v26, v25
	ds_store_2addr_b64 v4, v[9:10], v[7:8] offset1:1
	ds_store_2addr_b64 v4, v[5:6], v[93:94] offset0:2 offset1:3
	ds_store_2addr_b64 v4, v[97:98], v[87:88] offset0:4 offset1:5
	;; [unrolled: 1-line block ×7, first 2 shown]
	ds_store_b64 v4, v[2:3] offset:128
.LBB0_7:
	s_wait_alu 0xfffe
	s_or_b32 exec_lo, exec_lo, s0
	v_add_lshl_u32 v83, v61, v79, 3
	global_wb scope:SCOPE_SE
	s_wait_dscnt 0x0
	s_barrier_signal -1
	s_barrier_wait -1
	global_inv scope:SCOPE_SE
	ds_load_2addr_b64 v[4:7], v83 offset1:34
	ds_load_2addr_b64 v[12:15], v83 offset0:153 offset1:187
	ds_load_2addr_b64 v[8:11], v83 offset0:68 offset1:102
	;; [unrolled: 1-line block ×3, first 2 shown]
	v_cmp_gt_u16_e64 s0, 17, v79
	s_delay_alu instid0(VALU_DEP_1)
	s_and_saveexec_b32 s1, s0
	s_cbranch_execz .LBB0_9
; %bb.8:
	v_add_nc_u32_e32 v20, 0x400, v83
	ds_load_2addr_b64 v[36:39], v20 offset0:8 offset1:161
.LBB0_9:
	s_wait_alu 0xfffe
	s_or_b32 exec_lo, exec_lo, s1
	v_add_co_u32 v20, s1, 0xffffffef, v79
	s_wait_alu 0xf1ff
	v_add_co_ci_u32_e64 v21, null, 0, -1, s1
	v_add_nc_u16 v23, v79, 34
	s_delay_alu instid0(VALU_DEP_3) | instskip(SKIP_1) | instid1(VALU_DEP_4)
	v_cndmask_b32_e64 v20, v20, v79, s0
	v_add_nc_u16 v24, v79, 0x44
	v_cndmask_b32_e64 v21, v21, 0, s0
	v_add_nc_u16 v26, v79, 0x66
	v_and_b32_e32 v22, 0xff, v23
	v_add_nc_u16 v27, v79, 0x88
	s_delay_alu instid0(VALU_DEP_2) | instskip(SKIP_1) | instid1(VALU_DEP_3)
	v_mul_lo_u16 v28, 0xf1, v22
	v_lshlrev_b64_e32 v[21:22], 3, v[20:21]
	v_and_b32_e32 v30, 0xff, v27
	s_delay_alu instid0(VALU_DEP_3) | instskip(NEXT) | instid1(VALU_DEP_3)
	v_lshrrev_b16 v28, 12, v28
	v_add_co_u32 v21, s1, s2, v21
	s_wait_alu 0xf1ff
	s_delay_alu instid0(VALU_DEP_4)
	v_add_co_ci_u32_e64 v22, s1, s3, v22, s1
	v_mul_lo_u16 v30, 0xf1, v30
	v_mul_lo_u16 v31, v28, 17
	v_cmp_lt_u16_e64 s1, 16, v79
	global_load_b64 v[55:56], v[21:22], off
	v_and_b32_e32 v25, 0xff, v24
	v_and_b32_e32 v29, 0xff, v26
	v_lshrrev_b16 v30, 12, v30
	v_sub_nc_u16 v22, v23, v31
	s_delay_alu instid0(VALU_DEP_4) | instskip(NEXT) | instid1(VALU_DEP_4)
	v_mul_lo_u16 v25, 0xf1, v25
	v_mul_lo_u16 v29, 0xf1, v29
	s_delay_alu instid0(VALU_DEP_4) | instskip(NEXT) | instid1(VALU_DEP_3)
	v_mul_lo_u16 v23, v30, 17
	v_lshrrev_b16 v25, 12, v25
	s_delay_alu instid0(VALU_DEP_3) | instskip(NEXT) | instid1(VALU_DEP_3)
	v_lshrrev_b16 v29, 12, v29
	v_sub_nc_u16 v23, v27, v23
	s_delay_alu instid0(VALU_DEP_3) | instskip(NEXT) | instid1(VALU_DEP_3)
	v_mul_lo_u16 v32, v25, 17
	v_mul_lo_u16 v21, v29, 17
	s_delay_alu instid0(VALU_DEP_3) | instskip(NEXT) | instid1(VALU_DEP_3)
	v_and_b32_e32 v84, 0xff, v23
	v_sub_nc_u16 v24, v24, v32
	s_delay_alu instid0(VALU_DEP_3) | instskip(SKIP_2) | instid1(VALU_DEP_4)
	v_sub_nc_u16 v21, v26, v21
	v_and_b32_e32 v26, 0xff, v22
	v_mad_u16 v22, v28, 34, v22
	v_and_b32_e32 v24, 0xff, v24
	s_delay_alu instid0(VALU_DEP_4) | instskip(NEXT) | instid1(VALU_DEP_4)
	v_and_b32_e32 v21, 0xff, v21
	v_lshlrev_b32_e32 v26, 3, v26
	s_delay_alu instid0(VALU_DEP_3)
	v_lshlrev_b32_e32 v23, 3, v24
	global_load_b64 v[59:60], v26, s[2:3]
	v_lshlrev_b32_e32 v27, 3, v21
	v_lshlrev_b32_e32 v26, 3, v84
	s_clause 0x2
	global_load_b64 v[57:58], v23, s[2:3]
	global_load_b64 v[53:54], v27, s[2:3]
	;; [unrolled: 1-line block ×3, first 2 shown]
	s_wait_alu 0xf1ff
	v_cndmask_b32_e64 v23, 0, 34, s1
	s_load_b128 s[4:7], s[4:5], 0x0
	global_wb scope:SCOPE_SE
	s_wait_loadcnt_dscnt 0x0
	s_wait_kmcnt 0x0
	s_barrier_signal -1
	s_barrier_wait -1
	v_add_nc_u32_e32 v20, v20, v23
	v_and_b32_e32 v23, 0xffff, v25
	v_and_b32_e32 v25, 0xffff, v29
	global_inv scope:SCOPE_SE
	v_add_lshl_u32 v85, v61, v20, 3
	v_mul_u32_u24_e32 v20, 34, v23
	v_mul_u32_u24_e32 v23, 34, v25
	v_mul_f32_e32 v25, v13, v56
	v_mul_f32_e32 v26, v12, v56
	s_delay_alu instid0(VALU_DEP_2) | instskip(NEXT) | instid1(VALU_DEP_2)
	v_fma_f32 v12, v12, v55, -v25
	v_fmac_f32_e32 v26, v13, v55
	s_delay_alu instid0(VALU_DEP_2) | instskip(NEXT) | instid1(VALU_DEP_2)
	v_dual_sub_f32 v12, v4, v12 :: v_dual_add_nc_u32 v21, v23, v21
	v_sub_f32_e32 v13, v5, v26
	s_delay_alu instid0(VALU_DEP_2) | instskip(NEXT) | instid1(VALU_DEP_3)
	v_fma_f32 v4, v4, 2.0, -v12
	v_add_lshl_u32 v86, v61, v21, 3
	s_delay_alu instid0(VALU_DEP_3)
	v_fma_f32 v5, v5, 2.0, -v13
	v_mul_f32_e32 v21, v14, v60
	v_mul_f32_e32 v23, v16, v58
	;; [unrolled: 1-line block ×4, first 2 shown]
	v_add_nc_u32_e32 v20, v20, v24
	v_and_b32_e32 v22, 0xff, v22
	v_mul_f32_e32 v24, v19, v54
	v_fmac_f32_e32 v25, v19, v53
	v_fmac_f32_e32 v27, v39, v51
	v_add_lshl_u32 v87, v61, v20, 3
	v_mul_f32_e32 v20, v15, v60
	v_add_lshl_u32 v88, v61, v22, 3
	v_mul_f32_e32 v22, v17, v58
	v_mul_f32_e32 v26, v39, v52
	v_fmac_f32_e32 v21, v15, v59
	v_fma_f32 v14, v14, v59, -v20
	v_fmac_f32_e32 v23, v17, v57
	v_fma_f32 v16, v16, v57, -v22
	v_fma_f32 v18, v18, v53, -v24
	;; [unrolled: 1-line block ×3, first 2 shown]
	v_dual_sub_f32 v14, v6, v14 :: v_dual_sub_f32 v15, v7, v21
	s_delay_alu instid0(VALU_DEP_4) | instskip(NEXT) | instid1(VALU_DEP_4)
	v_dual_sub_f32 v16, v8, v16 :: v_dual_sub_f32 v17, v9, v23
	v_dual_sub_f32 v18, v10, v18 :: v_dual_sub_f32 v19, v11, v25
	s_delay_alu instid0(VALU_DEP_4) | instskip(NEXT) | instid1(VALU_DEP_4)
	v_dual_sub_f32 v20, v36, v20 :: v_dual_sub_f32 v21, v37, v27
	v_fma_f32 v6, v6, 2.0, -v14
	v_fma_f32 v7, v7, 2.0, -v15
	;; [unrolled: 1-line block ×6, first 2 shown]
	ds_store_2addr_b64 v85, v[4:5], v[12:13] offset1:17
	ds_store_2addr_b64 v88, v[6:7], v[14:15] offset1:17
	;; [unrolled: 1-line block ×4, first 2 shown]
	s_and_saveexec_b32 s1, s0
	s_cbranch_execz .LBB0_11
; %bb.10:
	v_add_lshl_u32 v6, v61, v84, 3
	v_fma_f32 v5, v37, 2.0, -v21
	v_fma_f32 v4, v36, 2.0, -v20
	s_delay_alu instid0(VALU_DEP_3)
	v_add_nc_u32_e32 v6, 0x800, v6
	ds_store_2addr_b64 v6, v[4:5], v[20:21] offset0:16 offset1:33
.LBB0_11:
	s_wait_alu 0xfffe
	s_or_b32 exec_lo, exec_lo, s1
	v_lshlrev_b32_e32 v4, 6, v79
	global_wb scope:SCOPE_SE
	s_wait_dscnt 0x0
	s_barrier_signal -1
	s_barrier_wait -1
	global_inv scope:SCOPE_SE
	s_clause 0x3
	global_load_b128 v[16:19], v4, s[2:3] offset:136
	global_load_b128 v[12:15], v4, s[2:3] offset:152
	;; [unrolled: 1-line block ×4, first 2 shown]
	ds_load_2addr_b64 v[22:25], v83 offset1:34
	ds_load_2addr_b64 v[26:29], v83 offset0:68 offset1:102
	ds_load_2addr_b64 v[30:33], v83 offset0:136 offset1:170
	ds_load_2addr_b64 v[34:37], v83 offset0:204 offset1:238
	ds_load_b64 v[38:39], v83 offset:2176
	v_lshl_add_u32 v82, v79, 3, v80
	s_wait_loadcnt_dscnt 0x304
	s_delay_alu instid0(VALU_DEP_1)
	v_dual_mul_f32 v62, v24, v17 :: v_dual_add_nc_u32 v63, 0x400, v82
	s_wait_dscnt 0x3
	v_dual_mul_f32 v61, v25, v17 :: v_dual_mul_f32 v64, v27, v19
	s_wait_loadcnt 0x2
	v_mul_f32_e32 v67, v28, v13
	v_dual_mul_f32 v65, v26, v19 :: v_dual_mul_f32 v66, v29, v13
	s_wait_loadcnt_dscnt 0x102
	v_dual_mul_f32 v68, v31, v15 :: v_dual_mul_f32 v71, v32, v9
	v_dual_mul_f32 v69, v30, v15 :: v_dual_mul_f32 v70, v33, v9
	s_wait_loadcnt_dscnt 0x1
	v_dual_mul_f32 v72, v35, v11 :: v_dual_mul_f32 v75, v36, v5
	v_dual_mul_f32 v73, v34, v11 :: v_dual_mul_f32 v74, v37, v5
	s_wait_dscnt 0x0
	v_dual_mul_f32 v76, v39, v7 :: v_dual_fmac_f32 v67, v29, v12
	v_dual_mul_f32 v89, v38, v7 :: v_dual_fmac_f32 v62, v25, v16
	v_fma_f32 v24, v24, v16, -v61
	v_fma_f32 v25, v26, v18, -v64
	;; [unrolled: 1-line block ×5, first 2 shown]
	v_fmac_f32_e32 v69, v31, v14
	v_fma_f32 v31, v36, v4, -v74
	v_fmac_f32_e32 v65, v27, v18
	v_fma_f32 v27, v30, v14, -v68
	v_fma_f32 v30, v38, v6, -v76
	v_fmac_f32_e32 v75, v37, v4
	v_fmac_f32_e32 v71, v33, v8
	v_dual_fmac_f32 v89, v39, v6 :: v_dual_add_f32 v34, v25, v31
	s_delay_alu instid0(VALU_DEP_4) | instskip(SKIP_2) | instid1(VALU_DEP_4)
	v_add_f32_e32 v32, v24, v30
	v_add_f32_e32 v36, v26, v29
	v_dual_sub_f32 v26, v26, v29 :: v_dual_fmac_f32 v73, v35, v10
	v_sub_f32_e32 v38, v62, v89
	v_dual_sub_f32 v30, v24, v30 :: v_dual_add_f32 v35, v65, v75
	v_dual_add_f32 v64, v27, v28 :: v_dual_add_f32 v33, v62, v89
	v_dual_sub_f32 v62, v69, v71 :: v_dual_sub_f32 v61, v27, v28
	s_delay_alu instid0(VALU_DEP_3) | instskip(NEXT) | instid1(VALU_DEP_3)
	v_dual_add_f32 v37, v67, v73 :: v_dual_mul_f32 v66, 0x3f248dbb, v30
	v_dual_fmamk_f32 v74, v64, 0x3f441b7d, v22 :: v_dual_sub_f32 v39, v65, v75
	s_delay_alu instid0(VALU_DEP_3)
	v_dual_mul_f32 v72, 0xbf248dbb, v61 :: v_dual_add_f32 v65, v69, v71
	v_dual_add_f32 v24, v36, v22 :: v_dual_sub_f32 v31, v25, v31
	v_dual_fmamk_f32 v68, v32, 0x3f441b7d, v22 :: v_dual_sub_f32 v29, v67, v73
	v_fmamk_f32 v70, v33, 0x3f441b7d, v23
	v_dual_mul_f32 v67, 0x3f248dbb, v38 :: v_dual_add_f32 v90, v34, v32
	v_dual_fmamk_f32 v75, v65, 0x3f441b7d, v23 :: v_dual_fmamk_f32 v94, v34, 0x3f441b7d, v22
	v_dual_add_f32 v76, v61, v30 :: v_dual_add_f32 v91, v35, v33
	v_mul_f32_e32 v73, 0xbf248dbb, v62
	v_dual_add_f32 v89, v62, v38 :: v_dual_mul_f32 v92, 0x3f7c1c5c, v61
	v_dual_mul_f32 v93, 0x3f7c1c5c, v62 :: v_dual_fmac_f32 v66, 0x3f7c1c5c, v31
	v_dual_fmamk_f32 v95, v35, 0x3f441b7d, v23 :: v_dual_add_f32 v96, v64, v90
	v_dual_add_f32 v25, v37, v23 :: v_dual_fmac_f32 v68, 0x3e31d0d4, v34
	v_dual_fmac_f32 v67, 0x3f7c1c5c, v39 :: v_dual_fmac_f32 v72, 0x3f7c1c5c, v30
	v_dual_fmac_f32 v70, 0x3e31d0d4, v35 :: v_dual_fmac_f32 v75, 0x3e31d0d4, v33
	v_dual_fmac_f32 v74, 0x3e31d0d4, v32 :: v_dual_sub_f32 v89, v89, v39
	v_dual_sub_f32 v76, v76, v31 :: v_dual_fmac_f32 v73, 0x3f7c1c5c, v38
	v_dual_fmac_f32 v68, -0.5, v36 :: v_dual_add_f32 v97, v65, v91
	v_add_f32_e32 v90, v36, v90
	v_fma_f32 v92, 0xbf248dbb, v31, -v92
	v_fma_f32 v93, 0xbf248dbb, v39, -v93
	v_dual_add_f32 v91, v37, v91 :: v_dual_fmac_f32 v94, 0x3e31d0d4, v64
	v_dual_fmac_f32 v95, 0x3e31d0d4, v65 :: v_dual_fmac_f32 v74, -0.5, v36
	v_dual_fmac_f32 v66, 0x3f5db3d7, v26 :: v_dual_fmac_f32 v67, 0x3f5db3d7, v29
	v_fmac_f32_e32 v70, -0.5, v37
	v_dual_fmac_f32 v72, 0xbf5db3d7, v26 :: v_dual_fmac_f32 v73, 0xbf5db3d7, v29
	v_dual_fmac_f32 v75, -0.5, v37 :: v_dual_mul_f32 v98, 0x3f5db3d7, v76
	v_dual_fmac_f32 v25, -0.5, v97 :: v_dual_fmac_f32 v92, 0x3f5db3d7, v26
	v_dual_fmac_f32 v93, 0x3f5db3d7, v29 :: v_dual_add_f32 v26, v27, v90
	v_dual_add_f32 v27, v69, v91 :: v_dual_fmac_f32 v94, -0.5, v36
	v_fmac_f32_e32 v95, -0.5, v37
	v_dual_mul_f32 v99, 0x3f5db3d7, v89 :: v_dual_fmac_f32 v24, -0.5, v96
	v_dual_fmac_f32 v66, 0x3eaf1d44, v61 :: v_dual_fmac_f32 v67, 0x3eaf1d44, v62
	v_dual_fmac_f32 v68, 0xbf708fb2, v64 :: v_dual_fmac_f32 v75, 0xbf708fb2, v35
	v_dual_fmac_f32 v70, 0xbf708fb2, v65 :: v_dual_add_f32 v27, v71, v27
	v_dual_fmac_f32 v72, 0x3eaf1d44, v31 :: v_dual_fmac_f32 v93, 0x3eaf1d44, v38
	v_dual_fmac_f32 v73, 0x3eaf1d44, v39 :: v_dual_fmac_f32 v92, 0x3eaf1d44, v30
	;; [unrolled: 1-line block ×3, first 2 shown]
	v_dual_fmac_f32 v25, 0xbf5db3d7, v76 :: v_dual_add_f32 v26, v28, v26
	v_fmac_f32_e32 v94, 0xbf708fb2, v32
	v_dual_fmac_f32 v24, 0x3f5db3d7, v89 :: v_dual_sub_f32 v37, v70, v66
	v_add_f32_e32 v36, v67, v68
	v_dual_add_f32 v38, v73, v74 :: v_dual_sub_f32 v39, v75, v72
	v_dual_add_f32 v61, v26, v22 :: v_dual_add_f32 v62, v27, v23
	v_dual_add_f32 v26, v93, v94 :: v_dual_sub_f32 v27, v95, v92
	v_fma_f32 v34, -2.0, v99, v24
	v_fma_f32 v35, 2.0, v98, v25
	v_fma_f32 v30, -2.0, v67, v36
	v_fma_f32 v31, 2.0, v66, v37
	v_fma_f32 v28, -2.0, v73, v38
	v_fma_f32 v32, -2.0, v93, v26
	v_fma_f32 v33, 2.0, v92, v27
	v_fma_f32 v29, 2.0, v72, v39
	ds_store_b64 v82, v[61:62]
	ds_store_2addr_b64 v82, v[36:37], v[38:39] offset0:34 offset1:68
	ds_store_2addr_b64 v82, v[24:25], v[26:27] offset0:102 offset1:136
	;; [unrolled: 1-line block ×4, first 2 shown]
	global_wb scope:SCOPE_SE
	s_wait_dscnt 0x0
	s_barrier_signal -1
	s_barrier_wait -1
	global_inv scope:SCOPE_SE
	s_and_saveexec_b32 s1, vcc_lo
	s_cbranch_execz .LBB0_13
; %bb.12:
	global_load_b64 v[22:23], v78, s[12:13] offset:2448
	s_add_nc_u64 s[2:3], s[12:13], 0x990
	s_clause 0xf
	global_load_b64 v[75:76], v78, s[2:3] offset:144
	global_load_b64 v[109:110], v78, s[2:3] offset:288
	;; [unrolled: 1-line block ×16, first 2 shown]
	ds_load_b64 v[63:64], v82
	v_add_nc_u32_e32 v139, 0x800, v82
	s_wait_loadcnt_dscnt 0x1000
	v_mul_f32_e32 v65, v64, v23
	v_mul_f32_e32 v66, v63, v23
	s_delay_alu instid0(VALU_DEP_2) | instskip(NEXT) | instid1(VALU_DEP_2)
	v_fma_f32 v65, v63, v22, -v65
	v_fmac_f32_e32 v66, v64, v22
	ds_store_b64 v82, v[65:66]
	ds_load_2addr_b64 v[63:66], v82 offset0:18 offset1:36
	ds_load_2addr_b64 v[67:70], v82 offset0:54 offset1:72
	;; [unrolled: 1-line block ×8, first 2 shown]
	s_wait_loadcnt_dscnt 0xf07
	v_mul_f32_e32 v23, v63, v76
	v_mul_f32_e32 v22, v64, v76
	s_wait_loadcnt 0xe
	v_mul_f32_e32 v140, v66, v110
	s_wait_loadcnt_dscnt 0xd06
	v_dual_mul_f32 v76, v65, v110 :: v_dual_mul_f32 v141, v68, v112
	v_dual_mul_f32 v110, v67, v112 :: v_dual_fmac_f32 v23, v64, v75
	s_wait_loadcnt_dscnt 0xb05
	v_dual_mul_f32 v142, v70, v114 :: v_dual_mul_f32 v143, v72, v116
	s_wait_loadcnt_dscnt 0x904
	v_dual_mul_f32 v112, v69, v114 :: v_dual_mul_f32 v145, v90, v120
	v_mul_f32_e32 v114, v71, v116
	v_mul_f32_e32 v144, v74, v118
	s_wait_loadcnt_dscnt 0x703
	v_dual_mul_f32 v116, v73, v118 :: v_dual_mul_f32 v147, v94, v124
	v_mul_f32_e32 v118, v89, v120
	s_wait_loadcnt_dscnt 0x502
	v_dual_mul_f32 v146, v92, v122 :: v_dual_mul_f32 v149, v98, v128
	s_wait_loadcnt_dscnt 0x301
	v_dual_mul_f32 v120, v91, v122 :: v_dual_mul_f32 v151, v102, v132
	v_mul_f32_e32 v122, v93, v124
	s_wait_loadcnt_dscnt 0x100
	v_dual_mul_f32 v148, v96, v126 :: v_dual_mul_f32 v153, v106, v136
	v_mul_f32_e32 v124, v95, v126
	v_mul_f32_e32 v126, v97, v128
	;; [unrolled: 1-line block ×8, first 2 shown]
	s_wait_loadcnt 0x0
	v_mul_f32_e32 v154, v108, v138
	v_mul_f32_e32 v136, v107, v138
	v_fma_f32 v22, v63, v75, -v22
	v_fma_f32 v75, v65, v109, -v140
	v_fmac_f32_e32 v76, v66, v109
	v_fma_f32 v109, v67, v111, -v141
	v_fmac_f32_e32 v110, v68, v111
	;; [unrolled: 2-line block ×15, first 2 shown]
	ds_store_2addr_b64 v82, v[22:23], v[75:76] offset0:18 offset1:36
	ds_store_2addr_b64 v82, v[109:110], v[111:112] offset0:54 offset1:72
	;; [unrolled: 1-line block ×8, first 2 shown]
.LBB0_13:
	s_wait_alu 0xfffe
	s_or_b32 exec_lo, exec_lo, s1
	global_wb scope:SCOPE_SE
	s_wait_dscnt 0x0
	s_barrier_signal -1
	s_barrier_wait -1
	global_inv scope:SCOPE_SE
	s_and_saveexec_b32 s1, vcc_lo
	s_cbranch_execz .LBB0_15
; %bb.14:
	ds_load_2addr_b64 v[20:23], v82 offset0:162 offset1:180
	ds_load_2addr_b64 v[41:44], v82 offset0:198 offset1:216
	s_wait_dscnt 0x1
	v_dual_mov_b32 v49, v22 :: v_dual_add_nc_u32 v0, 0x800, v82
	ds_load_2addr_b64 v[63:66], v82 offset0:234 offset1:252
	ds_load_2addr_b64 v[0:3], v0 offset0:14 offset1:32
	ds_load_b64 v[61:62], v82
	ds_load_2addr_b64 v[36:39], v82 offset0:18 offset1:36
	ds_load_2addr_b64 v[24:27], v82 offset0:54 offset1:72
	;; [unrolled: 1-line block ×4, first 2 shown]
	s_wait_dscnt 0x7
	v_dual_mov_b32 v50, v23 :: v_dual_mov_b32 v47, v41
	v_dual_mov_b32 v48, v42 :: v_dual_mov_b32 v45, v43
	s_wait_dscnt 0x6
	v_dual_mov_b32 v46, v44 :: v_dual_mov_b32 v43, v63
	v_dual_mov_b32 v44, v64 :: v_dual_mov_b32 v41, v65
	v_mov_b32_e32 v42, v66
.LBB0_15:
	s_wait_alu 0xfffe
	s_or_b32 exec_lo, exec_lo, s1
	s_wait_dscnt 0x3
	v_dual_sub_f32 v75, v37, v3 :: v_dual_add_f32 v76, v3, v37
	v_dual_add_f32 v89, v2, v36 :: v_dual_sub_f32 v92, v36, v2
	v_dual_add_f32 v90, v0, v38 :: v_dual_sub_f32 v105, v39, v1
	s_delay_alu instid0(VALU_DEP_3) | instskip(NEXT) | instid1(VALU_DEP_4)
	v_dual_mul_f32 v22, 0xbe3c28d5, v75 :: v_dual_sub_f32 v91, v38, v0
	v_dual_mul_f32 v23, 0xbf7ba420, v76 :: v_dual_add_f32 v112, v1, v39
	s_wait_dscnt 0x2
	v_sub_f32_e32 v106, v25, v42
	s_delay_alu instid0(VALU_DEP_3) | instskip(SKIP_2) | instid1(VALU_DEP_3)
	v_dual_fmamk_f32 v63, v89, 0xbf7ba420, v22 :: v_dual_sub_f32 v94, v24, v41
	v_fma_f32 v22, 0xbf7ba420, v89, -v22
	v_fmamk_f32 v65, v92, 0x3e3c28d5, v23
	v_dual_mul_f32 v64, 0x3eb8f4ab, v105 :: v_dual_add_f32 v63, v61, v63
	s_delay_alu instid0(VALU_DEP_3) | instskip(NEXT) | instid1(VALU_DEP_3)
	v_dual_fmac_f32 v23, 0xbe3c28d5, v92 :: v_dual_add_f32 v22, v61, v22
	v_dual_mul_f32 v66, 0x3f6eb680, v112 :: v_dual_add_f32 v65, v62, v65
	s_delay_alu instid0(VALU_DEP_3) | instskip(NEXT) | instid1(VALU_DEP_3)
	v_fmamk_f32 v67, v90, 0x3f6eb680, v64
	v_add_f32_e32 v23, v62, v23
	v_fma_f32 v64, 0x3f6eb680, v90, -v64
	s_delay_alu instid0(VALU_DEP_4) | instskip(SKIP_1) | instid1(VALU_DEP_3)
	v_fmamk_f32 v68, v91, 0xbeb8f4ab, v66
	v_dual_fmac_f32 v66, 0x3eb8f4ab, v91 :: v_dual_sub_f32 v107, v27, v44
	v_dual_add_f32 v125, v42, v25 :: v_dual_add_f32 v22, v64, v22
	s_delay_alu instid0(VALU_DEP_3) | instskip(NEXT) | instid1(VALU_DEP_3)
	v_add_f32_e32 v65, v68, v65
	v_add_f32_e32 v23, v66, v23
	s_delay_alu instid0(VALU_DEP_4) | instskip(NEXT) | instid1(VALU_DEP_4)
	v_mul_f32_e32 v66, 0x3f2c7751, v107
	v_dual_add_f32 v63, v67, v63 :: v_dual_mul_f32 v68, 0xbf59a7d5, v125
	v_add_f32_e32 v93, v41, v24
	v_dual_add_f32 v95, v43, v26 :: v_dual_sub_f32 v96, v26, v43
	s_wait_dscnt 0x1
	v_dual_add_f32 v97, v45, v32 :: v_dual_sub_f32 v100, v34, v47
	v_fmamk_f32 v64, v94, 0x3f06c442, v68
	v_dual_mul_f32 v67, 0xbf06c442, v106 :: v_dual_add_f32 v132, v44, v27
	v_fmac_f32_e32 v68, 0xbf06c442, v94
	v_sub_f32_e32 v108, v33, v46
	s_delay_alu instid0(VALU_DEP_3) | instskip(SKIP_3) | instid1(VALU_DEP_3)
	v_dual_add_f32 v64, v64, v65 :: v_dual_fmamk_f32 v69, v93, 0xbf59a7d5, v67
	v_fma_f32 v67, 0xbf59a7d5, v93, -v67
	v_dual_fmamk_f32 v65, v95, 0x3f3d2fb0, v66 :: v_dual_add_f32 v140, v46, v33
	v_fma_f32 v66, 0x3f3d2fb0, v95, -v66
	v_dual_add_f32 v63, v69, v63 :: v_dual_add_f32 v22, v67, v22
	v_dual_mul_f32 v67, 0x3f3d2fb0, v132 :: v_dual_sub_f32 v98, v32, v45
	v_dual_add_f32 v23, v68, v23 :: v_dual_mul_f32 v68, 0xbf4c4adb, v108
	v_mul_f32_e32 v69, 0xbf1a4643, v140
	s_delay_alu instid0(VALU_DEP_4) | instskip(NEXT) | instid1(VALU_DEP_4)
	v_add_f32_e32 v63, v65, v63
	v_dual_fmamk_f32 v65, v96, 0xbf2c7751, v67 :: v_dual_add_f32 v22, v66, v22
	s_delay_alu instid0(VALU_DEP_4) | instskip(SKIP_2) | instid1(VALU_DEP_3)
	v_fma_f32 v66, 0xbf1a4643, v97, -v68
	s_wait_dscnt 0x0
	v_dual_fmac_f32 v67, 0x3f2c7751, v96 :: v_dual_sub_f32 v114, v29, v50
	v_dual_add_f32 v64, v65, v64 :: v_dual_add_f32 v133, v50, v29
	s_delay_alu instid0(VALU_DEP_3) | instskip(NEXT) | instid1(VALU_DEP_3)
	v_dual_add_f32 v175, v48, v35 :: v_dual_add_f32 v22, v66, v22
	v_dual_fmamk_f32 v70, v98, 0x3f4c4adb, v69 :: v_dual_add_f32 v23, v67, v23
	v_fmamk_f32 v65, v97, 0xbf1a4643, v68
	v_dual_fmac_f32 v69, 0xbf4c4adb, v98 :: v_dual_sub_f32 v102, v28, v49
	s_delay_alu instid0(VALU_DEP_3)
	v_add_f32_e32 v64, v70, v64
	v_dual_mul_f32 v70, 0xbe8c1d8e, v133 :: v_dual_sub_f32 v109, v35, v48
	v_mul_f32_e32 v68, 0x3ee437d1, v175
	v_add_f32_e32 v63, v65, v63
	v_add_f32_e32 v99, v47, v34
	;; [unrolled: 1-line block ×3, first 2 shown]
	s_delay_alu instid0(VALU_DEP_4) | instskip(SKIP_3) | instid1(VALU_DEP_3)
	v_dual_sub_f32 v127, v31, v21 :: v_dual_fmamk_f32 v66, v100, 0xbf65296c, v68
	v_dual_mul_f32 v65, 0x3f65296c, v109 :: v_dual_fmac_f32 v68, 0x3f65296c, v100
	v_add_f32_e32 v135, v21, v31
	v_add_f32_e32 v101, v49, v28
	v_dual_add_f32 v64, v66, v64 :: v_dual_fmamk_f32 v67, v99, 0x3ee437d1, v65
	v_fma_f32 v65, 0x3ee437d1, v99, -v65
	v_dual_add_f32 v103, v20, v30 :: v_dual_sub_f32 v104, v30, v20
	global_wb scope:SCOPE_SE
	s_barrier_signal -1
	v_dual_add_f32 v22, v65, v22 :: v_dual_add_f32 v63, v67, v63
	v_fmamk_f32 v65, v102, 0x3f763a35, v70
	v_mul_f32_e32 v67, 0xbf763a35, v114
	v_dual_fmac_f32 v70, 0xbf763a35, v102 :: v_dual_add_f32 v23, v68, v23
	v_mul_f32_e32 v68, 0x3dbcf732, v135
	s_delay_alu instid0(VALU_DEP_4) | instskip(NEXT) | instid1(VALU_DEP_4)
	v_add_f32_e32 v64, v65, v64
	v_fma_f32 v66, 0xbe8c1d8e, v101, -v67
	v_fmamk_f32 v69, v101, 0xbe8c1d8e, v67
	v_mul_f32_e32 v67, 0x3f7ee86f, v127
	s_barrier_wait -1
	global_inv scope:SCOPE_SE
	v_add_f32_e32 v22, v66, v22
	v_dual_fmamk_f32 v66, v104, 0xbf7ee86f, v68 :: v_dual_add_f32 v63, v69, v63
	v_fmamk_f32 v65, v103, 0x3dbcf732, v67
	v_fma_f32 v67, 0x3dbcf732, v103, -v67
	v_fmac_f32_e32 v68, 0x3f7ee86f, v104
	s_delay_alu instid0(VALU_DEP_4) | instskip(SKIP_2) | instid1(VALU_DEP_2)
	v_add_f32_e32 v64, v66, v64
	v_add_f32_e32 v23, v70, v23
	;; [unrolled: 1-line block ×3, first 2 shown]
	v_dual_add_f32 v65, v67, v22 :: v_dual_add_f32 v66, v68, v23
	s_and_saveexec_b32 s1, vcc_lo
	s_cbranch_execz .LBB0_17
; %bb.16:
	v_mul_f32_e32 v131, 0xbf7ee86f, v106
	v_mul_f32_e32 v137, 0xbf06c442, v75
	;; [unrolled: 1-line block ×3, first 2 shown]
	v_dual_mul_f32 v120, 0x3f6eb680, v140 :: v_dual_mul_f32 v111, 0x3f6eb680, v125
	s_delay_alu instid0(VALU_DEP_4)
	v_fmamk_f32 v70, v93, 0x3dbcf732, v131
	v_mul_f32_e32 v136, 0x3f65296c, v105
	v_mul_f32_e32 v124, 0x3ee437d1, v112
	;; [unrolled: 1-line block ×3, first 2 shown]
	v_fmamk_f32 v68, v98, 0x3eb8f4ab, v120
	v_mul_f32_e32 v128, 0xbf1a4643, v76
	v_fmamk_f32 v69, v90, 0x3ee437d1, v136
	v_fmamk_f32 v22, v92, 0x3f06c442, v134
	v_mul_f32_e32 v121, 0xbf1a4643, v132
	v_fmamk_f32 v23, v91, 0xbf65296c, v124
	v_fmamk_f32 v67, v94, 0x3f7ee86f, v122
	v_dual_mul_f32 v130, 0x3f4c4adb, v107 :: v_dual_fmamk_f32 v71, v92, 0x3f4c4adb, v128
	v_dual_add_f32 v22, v62, v22 :: v_dual_mul_f32 v115, 0xbf7ba420, v175
	v_mul_f32_e32 v116, 0xbe8c1d8e, v112
	v_mul_f32_e32 v149, 0x3f2c7751, v114
	s_delay_alu instid0(VALU_DEP_3)
	v_dual_add_f32 v71, v62, v71 :: v_dual_add_f32 v22, v23, v22
	v_mul_f32_e32 v113, 0x3f3d2fb0, v133
	v_fmamk_f32 v23, v96, 0xbf4c4adb, v121
	v_mul_f32_e32 v160, 0x3f7ee86f, v108
	v_mul_f32_e32 v118, 0x3dbcf732, v140
	v_dual_add_f32 v22, v67, v22 :: v_dual_mul_f32 v119, 0x3f3d2fb0, v175
	v_mul_f32_e32 v167, 0xbe8c1d8e, v76
	v_mul_f32_e32 v143, 0xbf4c4adb, v75
	;; [unrolled: 1-line block ×3, first 2 shown]
	s_delay_alu instid0(VALU_DEP_4) | instskip(SKIP_1) | instid1(VALU_DEP_3)
	v_dual_add_f32 v22, v23, v22 :: v_dual_fmamk_f32 v67, v89, 0xbf59a7d5, v137
	v_mul_f32_e32 v147, 0x3f763a35, v105
	v_dual_mul_f32 v159, 0xbf06c442, v107 :: v_dual_fmamk_f32 v72, v91, 0xbf06c442, v168
	v_mul_f32_e32 v169, 0x3f3d2fb0, v125
	s_delay_alu instid0(VALU_DEP_4) | instskip(SKIP_3) | instid1(VALU_DEP_4)
	v_add_f32_e32 v23, v61, v67
	v_mul_f32_e32 v176, 0xbf763a35, v75
	v_mul_f32_e32 v161, 0xbf2c7751, v109
	;; [unrolled: 1-line block ×3, first 2 shown]
	v_dual_mul_f32 v162, 0xbe3c28d5, v114 :: v_dual_add_f32 v23, v69, v23
	v_fmamk_f32 v69, v95, 0xbf1a4643, v130
	v_mul_f32_e32 v139, 0xbf763a35, v127
	s_delay_alu instid0(VALU_DEP_4) | instskip(NEXT) | instid1(VALU_DEP_4)
	v_fmamk_f32 v155, v92, 0x3f65296c, v183
	v_dual_fmamk_f32 v73, v101, 0xbf7ba420, v162 :: v_dual_mul_f32 v152, 0xbf7ba420, v112
	v_dual_add_f32 v23, v70, v23 :: v_dual_fmamk_f32 v70, v91, 0xbf763a35, v116
	v_mul_f32_e32 v166, 0xbe3c28d5, v109
	v_mul_f32_e32 v186, 0xbe3c28d5, v105
	;; [unrolled: 1-line block ×3, first 2 shown]
	s_delay_alu instid0(VALU_DEP_4)
	v_dual_add_f32 v23, v69, v23 :: v_dual_add_f32 v22, v68, v22
	v_add_f32_e32 v69, v70, v71
	v_fmamk_f32 v70, v94, 0x3eb8f4ab, v111
	v_mul_f32_e32 v110, 0xbe8c1d8e, v135
	v_fmamk_f32 v71, v101, 0x3f3d2fb0, v149
	v_fmamk_f32 v67, v100, 0x3e3c28d5, v115
	v_mul_f32_e32 v129, 0xbeb8f4ab, v108
	v_add_f32_e32 v69, v70, v69
	v_dual_mul_f32 v145, 0x3dbcf732, v175 :: v_dual_mul_f32 v182, 0x3dbcf732, v76
	s_delay_alu instid0(VALU_DEP_4)
	v_dual_add_f32 v22, v67, v22 :: v_dual_fmamk_f32 v67, v104, 0x3f763a35, v110
	v_fmamk_f32 v68, v102, 0xbf2c7751, v113
	v_mul_f32_e32 v123, 0xbf7ba420, v133
	v_mul_f32_e32 v141, 0x3f6eb680, v133
	v_fmamk_f32 v74, v91, 0x3e3c28d5, v152
	v_mul_f32_e32 v146, 0xbf1a4643, v135
	v_add_f32_e32 v22, v68, v22
	v_dual_fmamk_f32 v68, v97, 0x3f6eb680, v129 :: v_dual_mul_f32 v163, 0x3f6eb680, v132
	v_mul_f32_e32 v151, 0xbeb8f4ab, v114
	v_mul_f32_e32 v215, 0xbf7ee86f, v105
	;; [unrolled: 1-line block ×3, first 2 shown]
	s_delay_alu instid0(VALU_DEP_4)
	v_dual_add_f32 v23, v68, v23 :: v_dual_fmamk_f32 v68, v99, 0xbf7ba420, v166
	v_mul_f32_e32 v200, 0x3f4c4adb, v114
	v_mul_f32_e32 v179, 0xbf1a4643, v112
	v_fmamk_f32 v194, v90, 0x3dbcf732, v215
	v_dual_fmamk_f32 v191, v91, 0x3f7ee86f, v209 :: v_dual_add_f32 v36, v36, v61
	v_dual_add_f32 v68, v68, v23 :: v_dual_add_f32 v23, v67, v22
	v_fmamk_f32 v67, v98, 0xbf7ee86f, v118
	v_mul_f32_e32 v117, 0xbf59a7d5, v132
	v_mul_f32_e32 v154, 0xbe8c1d8e, v125
	s_delay_alu instid0(VALU_DEP_4) | instskip(SKIP_1) | instid1(VALU_DEP_4)
	v_dual_add_f32 v68, v71, v68 :: v_dual_fmamk_f32 v71, v102, 0x3e3c28d5, v123
	v_fmamk_f32 v180, v101, 0xbf1a4643, v200
	v_fmamk_f32 v70, v96, 0x3f06c442, v117
	;; [unrolled: 1-line block ×3, first 2 shown]
	v_mul_f32_e32 v208, 0x3f3d2fb0, v76
	v_mul_f32_e32 v189, 0x3f2c7751, v127
	v_dual_mul_f32 v185, 0xbf7ee86f, v75 :: v_dual_mul_f32 v204, 0xbf7ee86f, v114
	v_dual_add_f32 v22, v70, v69 :: v_dual_fmamk_f32 v69, v103, 0xbe8c1d8e, v139
	s_delay_alu instid0(VALU_DEP_4) | instskip(SKIP_2) | instid1(VALU_DEP_4)
	v_fmamk_f32 v190, v92, 0x3f2c7751, v208
	v_mul_f32_e32 v210, 0xbf1a4643, v125
	v_mul_f32_e32 v172, 0xbf1a4643, v133
	v_dual_add_f32 v22, v67, v22 :: v_dual_fmamk_f32 v67, v100, 0x3f2c7751, v119
	v_mul_f32_e32 v173, 0xbf4c4adb, v127
	v_mul_f32_e32 v187, 0x3f763a35, v106
	;; [unrolled: 1-line block ×4, first 2 shown]
	v_dual_add_f32 v67, v67, v22 :: v_dual_add_f32 v22, v69, v68
	v_fmamk_f32 v69, v90, 0xbe8c1d8e, v147
	v_mul_f32_e32 v212, 0xbf59a7d5, v140
	v_mul_f32_e32 v207, 0xbf06c442, v109
	s_delay_alu instid0(VALU_DEP_4)
	v_add_f32_e32 v67, v71, v67
	v_fmamk_f32 v71, v92, 0x3f763a35, v167
	v_mul_f32_e32 v195, 0xbf65296c, v75
	v_mul_f32_e32 v203, 0xbeb8f4ab, v109
	v_fmac_f32_e32 v123, 0xbe3c28d5, v102
	v_fmac_f32_e32 v111, 0xbeb8f4ab, v94
	v_dual_add_f32 v71, v62, v71 :: v_dual_fmamk_f32 v70, v89, 0xbf1a4643, v143
	v_dual_fmamk_f32 v181, v89, 0x3ee437d1, v195 :: v_dual_add_f32 v156, v62, v155
	v_mul_f32_e32 v155, 0xbf7ba420, v125
	s_delay_alu instid0(VALU_DEP_3) | instskip(SKIP_1) | instid1(VALU_DEP_4)
	v_dual_add_f32 v71, v72, v71 :: v_dual_add_f32 v68, v61, v70
	v_fmamk_f32 v72, v94, 0xbf2c7751, v169
	v_dual_mul_f32 v138, 0xbeb8f4ab, v106 :: v_dual_add_f32 v157, v157, v156
	s_delay_alu instid0(VALU_DEP_4) | instskip(NEXT) | instid1(VALU_DEP_3)
	v_fmamk_f32 v158, v94, 0xbe3c28d5, v155
	v_dual_add_f32 v68, v69, v68 :: v_dual_add_f32 v71, v72, v71
	s_delay_alu instid0(VALU_DEP_3) | instskip(SKIP_3) | instid1(VALU_DEP_4)
	v_fmamk_f32 v69, v93, 0x3f6eb680, v138
	v_fmac_f32_e32 v115, 0xbe3c28d5, v100
	v_fmac_f32_e32 v117, 0xbf06c442, v96
	;; [unrolled: 1-line block ×3, first 2 shown]
	v_dual_mul_f32 v153, 0x3f65296c, v127 :: v_dual_add_f32 v68, v69, v68
	v_fmamk_f32 v69, v95, 0xbf59a7d5, v159
	v_fmac_f32_e32 v119, 0xbf2c7751, v100
	v_fmac_f32_e32 v113, 0x3f2c7751, v102
	v_mul_f32_e32 v164, 0x3ee437d1, v140
	v_mul_f32_e32 v148, 0x3f7ee86f, v109
	v_add_f32_e32 v68, v69, v68
	v_dual_fmamk_f32 v69, v97, 0x3dbcf732, v160 :: v_dual_add_f32 v158, v158, v157
	v_mul_f32_e32 v157, 0x3f3d2fb0, v140
	v_dual_mul_f32 v140, 0xbe8c1d8e, v140 :: v_dual_add_f32 v37, v37, v62
	s_delay_alu instid0(VALU_DEP_3) | instskip(SKIP_2) | instid1(VALU_DEP_4)
	v_dual_add_f32 v68, v69, v68 :: v_dual_fmamk_f32 v69, v99, 0x3f3d2fb0, v161
	v_mul_f32_e32 v126, 0x3ee437d1, v135
	v_mul_f32_e32 v201, 0x3f763a35, v107
	v_dual_mul_f32 v222, 0xbeb8f4ab, v75 :: v_dual_add_f32 v37, v39, v37
	s_delay_alu instid0(VALU_DEP_3) | instskip(SKIP_1) | instid1(VALU_DEP_3)
	v_dual_add_f32 v69, v69, v68 :: v_dual_fmamk_f32 v70, v104, 0xbf65296c, v126
	v_dual_mul_f32 v39, 0xbf59a7d5, v133 :: v_dual_add_f32 v190, v62, v190
	v_add_f32_e32 v25, v25, v37
	s_delay_alu instid0(VALU_DEP_3)
	v_dual_add_f32 v69, v73, v69 :: v_dual_add_f32 v68, v70, v67
	v_fmamk_f32 v70, v98, 0x3e3c28d5, v171
	v_mul_f32_e32 v170, 0x3ee437d1, v132
	v_fmamk_f32 v73, v102, 0x3eb8f4ab, v141
	v_mul_f32_e32 v37, 0xbf65296c, v106
	v_dual_add_f32 v190, v191, v190 :: v_dual_fmamk_f32 v191, v94, 0x3f4c4adb, v210
	s_delay_alu instid0(VALU_DEP_4) | instskip(SKIP_2) | instid1(VALU_DEP_4)
	v_fmamk_f32 v72, v96, 0x3f65296c, v170
	v_mul_f32_e32 v165, 0xbf59a7d5, v175
	v_add_f32_e32 v25, v27, v25
	v_dual_fmamk_f32 v27, v93, 0x3ee437d1, v37 :: v_dual_add_f32 v190, v191, v190
	s_delay_alu instid0(VALU_DEP_4)
	v_add_f32_e32 v67, v72, v71
	v_fmamk_f32 v71, v103, 0x3ee437d1, v153
	v_fmamk_f32 v72, v89, 0xbe8c1d8e, v176
	;; [unrolled: 1-line block ×3, first 2 shown]
	v_mul_f32_e32 v205, 0x3eb8f4ab, v107
	v_dual_add_f32 v67, v70, v67 :: v_dual_fmamk_f32 v70, v100, 0xbf7ee86f, v145
	v_dual_add_f32 v25, v33, v25 :: v_dual_fmac_f32 v134, 0xbf06c442, v92
	v_mul_f32_e32 v33, 0xbf763a35, v108
	v_fmac_f32_e32 v124, 0x3f65296c, v91
	s_delay_alu instid0(VALU_DEP_4) | instskip(SKIP_1) | instid1(VALU_DEP_2)
	v_dual_add_f32 v70, v70, v67 :: v_dual_add_f32 v67, v71, v69
	v_dual_add_f32 v69, v61, v72 :: v_dual_fmamk_f32 v72, v104, 0x3f4c4adb, v146
	v_dual_add_f32 v25, v35, v25 :: v_dual_add_f32 v70, v73, v70
	v_fmamk_f32 v73, v92, 0x3f7ee86f, v182
	v_mul_f32_e32 v150, 0x3f2c7751, v106
	v_mul_f32_e32 v35, 0xbf7ba420, v135
	s_delay_alu instid0(VALU_DEP_4) | instskip(NEXT) | instid1(VALU_DEP_4)
	v_dual_add_f32 v25, v29, v25 :: v_dual_fmac_f32 v122, 0xbf7ee86f, v94
	v_dual_add_f32 v73, v62, v73 :: v_dual_mul_f32 v142, 0xbf65296c, v107
	v_add_f32_e32 v70, v72, v70
	s_delay_alu instid0(VALU_DEP_4) | instskip(NEXT) | instid1(VALU_DEP_3)
	v_fmamk_f32 v29, v104, 0x3e3c28d5, v35
	v_dual_mul_f32 v206, 0xbf65296c, v108 :: v_dual_add_f32 v73, v74, v73
	v_fmamk_f32 v74, v94, 0xbf763a35, v154
	v_mul_f32_e32 v144, 0xbe3c28d5, v108
	v_mul_f32_e32 v156, 0xbe8c1d8e, v132
	;; [unrolled: 1-line block ×3, first 2 shown]
	s_delay_alu instid0(VALU_DEP_4)
	v_dual_mul_f32 v196, 0xbe8c1d8e, v175 :: v_dual_add_f32 v73, v74, v73
	v_fmamk_f32 v74, v96, 0xbeb8f4ab, v163
	v_mul_f32_e32 v214, 0xbf2c7751, v75
	v_add_f32_e32 v36, v38, v36
	v_fmamk_f32 v38, v102, 0x3f06c442, v39
	v_fmac_f32_e32 v120, 0xbeb8f4ab, v98
	v_add_f32_e32 v72, v74, v73
	v_fmamk_f32 v73, v98, 0x3f65296c, v164
	v_mul_f32_e32 v178, 0x3f06c442, v105
	v_fmamk_f32 v74, v89, 0x3dbcf732, v185
	v_dual_add_f32 v24, v24, v36 :: v_dual_mul_f32 v213, 0xbf06c442, v127
	v_mul_f32_e32 v36, 0xbf7ee86f, v107
	s_delay_alu instid0(VALU_DEP_4) | instskip(SKIP_1) | instid1(VALU_DEP_4)
	v_fmamk_f32 v71, v90, 0xbf59a7d5, v178
	v_fmac_f32_e32 v128, 0xbf4c4adb, v92
	v_add_f32_e32 v24, v26, v24
	v_fmac_f32_e32 v110, 0xbf763a35, v104
	s_delay_alu instid0(VALU_DEP_4) | instskip(NEXT) | instid1(VALU_DEP_3)
	v_dual_fmac_f32 v116, 0x3f763a35, v91 :: v_dual_add_f32 v69, v71, v69
	v_dual_fmamk_f32 v71, v93, 0x3f3d2fb0, v150 :: v_dual_add_f32 v24, v32, v24
	v_mul_f32_e32 v32, 0xbf4c4adb, v109
	v_fmac_f32_e32 v121, 0x3f4c4adb, v96
	s_delay_alu instid0(VALU_DEP_3) | instskip(NEXT) | instid1(VALU_DEP_4)
	v_dual_fmac_f32 v118, 0x3f7ee86f, v98 :: v_dual_add_f32 v69, v71, v69
	v_dual_fmamk_f32 v71, v95, 0x3ee437d1, v142 :: v_dual_add_f32 v24, v34, v24
	v_mul_f32_e32 v34, 0xbf06c442, v114
	v_fmac_f32_e32 v168, 0x3f06c442, v91
	s_delay_alu instid0(VALU_DEP_3) | instskip(NEXT) | instid1(VALU_DEP_4)
	v_dual_fmac_f32 v170, 0xbf65296c, v96 :: v_dual_add_f32 v69, v71, v69
	v_dual_fmamk_f32 v71, v97, 0xbf7ba420, v144 :: v_dual_add_f32 v24, v28, v24
	v_fmamk_f32 v28, v99, 0xbf1a4643, v32
	v_fmac_f32_e32 v126, 0x3f65296c, v104
	s_delay_alu instid0(VALU_DEP_3) | instskip(NEXT) | instid1(VALU_DEP_4)
	v_dual_fmac_f32 v182, 0xbf7ee86f, v92 :: v_dual_add_f32 v69, v71, v69
	v_dual_fmamk_f32 v71, v99, 0x3dbcf732, v148 :: v_dual_add_f32 v24, v30, v24
	v_fmac_f32_e32 v152, 0xbe3c28d5, v91
	v_fmac_f32_e32 v154, 0x3f763a35, v94
	s_delay_alu instid0(VALU_DEP_3) | instskip(NEXT) | instid1(VALU_DEP_4)
	v_dual_fmac_f32 v146, 0xbf4c4adb, v104 :: v_dual_add_f32 v69, v71, v69
	v_dual_fmamk_f32 v71, v101, 0x3f6eb680, v151 :: v_dual_add_f32 v20, v20, v24
	v_fmac_f32_e32 v164, 0xbf65296c, v98
	v_fmac_f32_e32 v209, 0xbf7ee86f, v91
	s_delay_alu instid0(VALU_DEP_3) | instskip(SKIP_3) | instid1(VALU_DEP_3)
	v_add_f32_e32 v69, v71, v69
	v_dual_add_f32 v71, v73, v72 :: v_dual_fmamk_f32 v72, v100, 0x3f06c442, v165
	v_add_f32_e32 v20, v49, v20
	v_fma_f32 v30, 0xbf59a7d5, v90, -v178
	v_dual_add_f32 v71, v72, v71 :: v_dual_fmamk_f32 v72, v102, 0xbf4c4adb, v172
	v_fmamk_f32 v73, v103, 0xbf1a4643, v173
	s_delay_alu instid0(VALU_DEP_2) | instskip(NEXT) | instid1(VALU_DEP_2)
	v_dual_add_f32 v20, v47, v20 :: v_dual_add_f32 v71, v72, v71
	v_add_f32_e32 v69, v73, v69
	v_dual_add_f32 v73, v61, v74 :: v_dual_fmamk_f32 v74, v90, 0xbf7ba420, v186
	s_delay_alu instid0(VALU_DEP_3) | instskip(SKIP_1) | instid1(VALU_DEP_3)
	v_add_f32_e32 v20, v45, v20
	v_fma_f32 v45, 0x3dbcf732, v90, -v215
	v_dual_add_f32 v72, v74, v73 :: v_dual_fmamk_f32 v73, v93, 0xbe8c1d8e, v187
	s_delay_alu instid0(VALU_DEP_3) | instskip(SKIP_1) | instid1(VALU_DEP_3)
	v_add_f32_e32 v20, v43, v20
	v_fma_f32 v37, 0x3ee437d1, v93, -v37
	v_dual_add_f32 v72, v73, v72 :: v_dual_fmamk_f32 v73, v95, 0x3f6eb680, v205
	s_delay_alu instid0(VALU_DEP_3) | instskip(NEXT) | instid1(VALU_DEP_2)
	v_add_f32_e32 v20, v41, v20
	v_add_f32_e32 v72, v73, v72
	s_delay_alu instid0(VALU_DEP_2) | instskip(NEXT) | instid1(VALU_DEP_1)
	v_dual_fmamk_f32 v73, v97, 0x3ee437d1, v206 :: v_dual_add_f32 v0, v0, v20
	v_dual_fmac_f32 v141, 0xbeb8f4ab, v102 :: v_dual_add_f32 v72, v73, v72
	s_delay_alu instid0(VALU_DEP_2) | instskip(NEXT) | instid1(VALU_DEP_1)
	v_dual_fmamk_f32 v73, v99, 0xbf59a7d5, v207 :: v_dual_add_f32 v0, v2, v0
	v_add_f32_e32 v73, v73, v72
	s_delay_alu instid0(VALU_DEP_1) | instskip(SKIP_1) | instid1(VALU_DEP_1)
	v_dual_add_f32 v73, v180, v73 :: v_dual_fmamk_f32 v180, v103, 0x3f3d2fb0, v189
	v_fmamk_f32 v74, v104, 0xbf2c7751, v177
	v_dual_fmac_f32 v177, 0x3f2c7751, v104 :: v_dual_add_f32 v72, v74, v71
	v_fmamk_f32 v74, v98, 0xbf2c7751, v157
	v_fmamk_f32 v174, v96, 0xbf763a35, v156
	v_fmac_f32_e32 v163, 0x3eb8f4ab, v96
	s_delay_alu instid0(VALU_DEP_2) | instskip(SKIP_2) | instid1(VALU_DEP_3)
	v_dual_add_f32 v71, v174, v158 :: v_dual_mul_f32 v174, 0x3dbcf732, v133
	v_mul_f32_e32 v158, 0x3f6eb680, v175
	v_mul_f32_e32 v175, 0xbf1a4643, v175
	v_add_f32_e32 v71, v74, v71
	s_delay_alu instid0(VALU_DEP_4) | instskip(NEXT) | instid1(VALU_DEP_4)
	v_fmamk_f32 v184, v102, 0x3f7ee86f, v174
	v_fmamk_f32 v74, v100, 0x3eb8f4ab, v158
	s_delay_alu instid0(VALU_DEP_1) | instskip(SKIP_1) | instid1(VALU_DEP_2)
	v_dual_add_f32 v74, v74, v71 :: v_dual_add_f32 v71, v180, v73
	v_dual_mul_f32 v180, 0xbf59a7d5, v135 :: v_dual_add_f32 v73, v61, v181
	v_add_f32_e32 v74, v184, v74
	s_delay_alu instid0(VALU_DEP_2) | instskip(NEXT) | instid1(VALU_DEP_1)
	v_fmamk_f32 v184, v104, 0x3f06c442, v180
	v_add_f32_e32 v74, v184, v74
	v_add_f32_e32 v184, v191, v190
	v_fmamk_f32 v190, v98, 0xbf06c442, v212
	v_mul_f32_e32 v198, 0xbf4c4adb, v105
	v_fmamk_f32 v191, v89, 0x3f3d2fb0, v214
	v_mul_f32_e32 v105, 0xbf2c7751, v105
	v_fma_f32 v41, 0xbf59a7d5, v99, -v207
	v_fmac_f32_e32 v183, 0xbf65296c, v92
	v_fmamk_f32 v181, v90, 0xbf1a4643, v198
	v_dual_add_f32 v191, v61, v191 :: v_dual_fmac_f32 v172, 0x3f4c4adb, v102
	s_delay_alu instid0(VALU_DEP_2) | instskip(SKIP_1) | instid1(VALU_DEP_1)
	v_add_f32_e32 v73, v181, v73
	v_fmamk_f32 v181, v93, 0xbf7ba420, v188
	v_add_f32_e32 v73, v181, v73
	v_fmamk_f32 v181, v95, 0xbe8c1d8e, v201
	s_delay_alu instid0(VALU_DEP_1) | instskip(NEXT) | instid1(VALU_DEP_1)
	v_dual_mul_f32 v202, 0x3f2c7751, v108 :: v_dual_add_f32 v73, v181, v73
	v_fmamk_f32 v181, v97, 0x3f3d2fb0, v202
	s_delay_alu instid0(VALU_DEP_1) | instskip(SKIP_1) | instid1(VALU_DEP_1)
	v_add_f32_e32 v73, v181, v73
	v_fmamk_f32 v181, v99, 0x3f6eb680, v203
	v_add_f32_e32 v73, v181, v73
	v_fmamk_f32 v181, v101, 0x3dbcf732, v204
	s_delay_alu instid0(VALU_DEP_1) | instskip(SKIP_4) | instid1(VALU_DEP_4)
	v_add_f32_e32 v73, v181, v73
	v_dual_add_f32 v181, v190, v184 :: v_dual_fmamk_f32 v184, v100, 0xbf763a35, v196
	v_mul_f32_e32 v190, 0x3ee437d1, v133
	v_fmamk_f32 v192, v103, 0xbf59a7d5, v213
	v_fma_f32 v43, 0xbf1a4643, v90, -v198
	v_add_f32_e32 v181, v184, v181
	s_delay_alu instid0(VALU_DEP_4) | instskip(NEXT) | instid1(VALU_DEP_4)
	v_fmamk_f32 v193, v102, 0xbf65296c, v190
	v_dual_mul_f32 v184, 0xbf4c4adb, v106 :: v_dual_add_f32 v73, v192, v73
	s_delay_alu instid0(VALU_DEP_2)
	v_dual_add_f32 v216, v193, v181 :: v_dual_mul_f32 v193, 0x3f6eb680, v76
	v_add_f32_e32 v76, v194, v191
	v_mul_f32_e32 v191, 0xbe3c28d5, v107
	v_mul_f32_e32 v194, 0x3f3d2fb0, v112
	v_mul_f32_e32 v181, 0x3f6eb680, v135
	v_fmamk_f32 v197, v92, 0x3eb8f4ab, v193
	v_fmamk_f32 v192, v93, 0xbf1a4643, v184
	;; [unrolled: 1-line block ×4, first 2 shown]
	s_delay_alu instid0(VALU_DEP_4) | instskip(NEXT) | instid1(VALU_DEP_4)
	v_dual_fmamk_f32 v220, v104, 0xbeb8f4ab, v181 :: v_dual_add_f32 v199, v62, v197
	v_add_f32_e32 v76, v192, v76
	v_mul_f32_e32 v192, 0x3f06c442, v108
	v_mul_f32_e32 v197, 0x3ee437d1, v125
	;; [unrolled: 1-line block ×3, first 2 shown]
	v_add_f32_e32 v217, v217, v199
	v_mul_f32_e32 v199, 0x3dbcf732, v132
	v_mul_f32_e32 v132, 0x3f65296c, v114
	v_add_f32_e32 v76, v112, v76
	v_fmac_f32_e32 v194, 0xbf2c7751, v91
	s_delay_alu instid0(VALU_DEP_3) | instskip(SKIP_3) | instid1(VALU_DEP_3)
	v_fmamk_f32 v219, v101, 0x3ee437d1, v132
	v_fmamk_f32 v218, v94, 0x3f65296c, v197
	;; [unrolled: 1-line block ×3, first 2 shown]
	v_fmac_f32_e32 v197, 0xbf65296c, v94
	v_dual_add_f32 v217, v218, v217 :: v_dual_fmamk_f32 v218, v96, 0x3f7ee86f, v199
	s_delay_alu instid0(VALU_DEP_3) | instskip(NEXT) | instid1(VALU_DEP_2)
	v_add_f32_e32 v76, v112, v76
	v_dual_fmamk_f32 v112, v99, 0xbe8c1d8e, v125 :: v_dual_add_f32 v217, v218, v217
	v_fmamk_f32 v218, v98, 0x3f763a35, v140
	s_delay_alu instid0(VALU_DEP_2) | instskip(SKIP_2) | instid1(VALU_DEP_4)
	v_add_f32_e32 v76, v112, v76
	v_mul_f32_e32 v112, 0x3eb8f4ab, v127
	v_fmac_f32_e32 v140, 0xbf763a35, v98
	v_dual_fmac_f32 v190, 0x3f65296c, v102 :: v_dual_add_f32 v217, v218, v217
	s_delay_alu instid0(VALU_DEP_4) | instskip(NEXT) | instid1(VALU_DEP_4)
	v_dual_fmamk_f32 v218, v100, 0x3f4c4adb, v175 :: v_dual_add_f32 v219, v219, v76
	v_dual_fmamk_f32 v221, v103, 0x3f6eb680, v112 :: v_dual_add_f32 v76, v220, v216
	v_fmac_f32_e32 v180, 0xbf06c442, v104
	s_delay_alu instid0(VALU_DEP_3) | instskip(SKIP_2) | instid1(VALU_DEP_3)
	v_dual_add_f32 v216, v218, v217 :: v_dual_fmamk_f32 v217, v89, 0x3f6eb680, v222
	v_fmac_f32_e32 v157, 0x3f2c7751, v98
	v_fmac_f32_e32 v175, 0xbf4c4adb, v100
	v_dual_add_f32 v75, v221, v219 :: v_dual_add_f32 v38, v38, v216
	s_delay_alu instid0(VALU_DEP_4) | instskip(SKIP_1) | instid1(VALU_DEP_1)
	v_add_f32_e32 v133, v61, v217
	v_fmamk_f32 v217, v90, 0x3f3d2fb0, v105
	v_dual_add_f32 v106, v217, v133 :: v_dual_fmac_f32 v211, 0xbe3c28d5, v96
	s_delay_alu instid0(VALU_DEP_1) | instskip(SKIP_2) | instid1(VALU_DEP_2)
	v_add_f32_e32 v26, v27, v106
	v_fmamk_f32 v27, v95, 0x3dbcf732, v36
	v_fma_f32 v36, 0x3dbcf732, v95, -v36
	v_dual_add_f32 v26, v27, v26 :: v_dual_fmamk_f32 v27, v97, 0xbe8c1d8e, v33
	v_fmac_f32_e32 v193, 0xbeb8f4ab, v92
	v_fmac_f32_e32 v174, 0xbf7ee86f, v102
	s_delay_alu instid0(VALU_DEP_3) | instskip(SKIP_3) | instid1(VALU_DEP_3)
	v_add_f32_e32 v26, v27, v26
	v_add_f32_e32 v27, v31, v25
	v_dual_add_f32 v25, v29, v38 :: v_dual_mul_f32 v38, 0xbe3c28d5, v127
	v_fma_f32 v31, 0xbf7ba420, v90, -v186
	v_dual_add_f32 v26, v28, v26 :: v_dual_add_f32 v21, v21, v27
	v_fmamk_f32 v27, v101, 0xbf59a7d5, v34
	v_fma_f32 v28, 0x3ee437d1, v90, -v136
	v_fmac_f32_e32 v145, 0x3f7ee86f, v100
	v_fma_f32 v32, 0xbf1a4643, v99, -v32
	s_delay_alu instid0(VALU_DEP_4) | instskip(SKIP_2) | instid1(VALU_DEP_3)
	v_dual_add_f32 v21, v50, v21 :: v_dual_add_f32 v24, v27, v26
	v_dual_fmamk_f32 v26, v103, 0xbf7ba420, v38 :: v_dual_add_f32 v27, v62, v134
	v_fma_f32 v38, 0xbf7ba420, v103, -v38
	v_add_f32_e32 v21, v48, v21
	v_fmac_f32_e32 v199, 0xbf7ee86f, v96
	s_delay_alu instid0(VALU_DEP_4) | instskip(SKIP_4) | instid1(VALU_DEP_4)
	v_add_f32_e32 v24, v26, v24
	v_fma_f32 v26, 0xbf59a7d5, v89, -v137
	v_add_f32_e32 v27, v124, v27
	v_add_f32_e32 v21, v46, v21
	v_fma_f32 v46, 0x3f3d2fb0, v90, -v105
	v_dual_fmac_f32 v181, 0x3eb8f4ab, v104 :: v_dual_add_f32 v26, v61, v26
	s_delay_alu instid0(VALU_DEP_4) | instskip(NEXT) | instid1(VALU_DEP_4)
	v_add_f32_e32 v27, v122, v27
	v_add_f32_e32 v21, v44, v21
	v_fmac_f32_e32 v39, 0xbf06c442, v102
	s_delay_alu instid0(VALU_DEP_4) | instskip(SKIP_1) | instid1(VALU_DEP_4)
	v_dual_fmac_f32 v35, 0xbe3c28d5, v104 :: v_dual_add_f32 v26, v28, v26
	v_fma_f32 v28, 0x3dbcf732, v93, -v131
	v_add_f32_e32 v21, v42, v21
	s_delay_alu instid0(VALU_DEP_2) | instskip(SKIP_1) | instid1(VALU_DEP_3)
	v_dual_add_f32 v27, v121, v27 :: v_dual_add_f32 v26, v28, v26
	v_fma_f32 v28, 0xbf1a4643, v95, -v130
	v_add_f32_e32 v1, v1, v21
	s_delay_alu instid0(VALU_DEP_3) | instskip(SKIP_1) | instid1(VALU_DEP_3)
	v_add_f32_e32 v21, v120, v27
	v_fma_f32 v27, 0x3f6eb680, v97, -v129
	v_dual_add_f32 v26, v28, v26 :: v_dual_add_f32 v1, v3, v1
	s_delay_alu instid0(VALU_DEP_3) | instskip(SKIP_2) | instid1(VALU_DEP_4)
	v_add_f32_e32 v3, v115, v21
	v_fma_f32 v21, 0xbf7ba420, v99, -v166
	v_fma_f32 v28, 0xbe8c1d8e, v90, -v147
	v_add_f32_e32 v20, v27, v26
	v_add_f32_e32 v26, v62, v128
	;; [unrolled: 1-line block ×3, first 2 shown]
	v_fma_f32 v33, 0xbe8c1d8e, v97, -v33
	s_delay_alu instid0(VALU_DEP_4) | instskip(SKIP_1) | instid1(VALU_DEP_4)
	v_add_f32_e32 v20, v21, v20
	v_fma_f32 v21, 0x3f3d2fb0, v101, -v149
	v_add_f32_e32 v3, v110, v2
	v_fma_f32 v2, 0xbf1a4643, v89, -v143
	v_add_f32_e32 v26, v116, v26
	s_delay_alu instid0(VALU_DEP_4) | instskip(SKIP_1) | instid1(VALU_DEP_4)
	v_add_f32_e32 v20, v21, v20
	v_fma_f32 v21, 0xbe8c1d8e, v103, -v139
	v_add_f32_e32 v27, v61, v2
	s_delay_alu instid0(VALU_DEP_2) | instskip(NEXT) | instid1(VALU_DEP_2)
	v_add_f32_e32 v2, v21, v20
	v_dual_add_f32 v20, v111, v26 :: v_dual_add_f32 v21, v28, v27
	v_fma_f32 v26, 0x3f6eb680, v93, -v138
	v_fma_f32 v28, 0xbf7ba420, v101, -v162
	s_delay_alu instid0(VALU_DEP_2) | instskip(SKIP_1) | instid1(VALU_DEP_2)
	v_dual_add_f32 v20, v117, v20 :: v_dual_add_f32 v21, v26, v21
	v_fma_f32 v26, 0xbf59a7d5, v95, -v159
	v_add_f32_e32 v20, v118, v20
	s_delay_alu instid0(VALU_DEP_2) | instskip(SKIP_1) | instid1(VALU_DEP_1)
	v_add_f32_e32 v21, v26, v21
	v_fma_f32 v26, 0x3dbcf732, v97, -v160
	v_dual_add_f32 v20, v119, v20 :: v_dual_add_f32 v21, v26, v21
	v_fma_f32 v26, 0x3f3d2fb0, v99, -v161
	s_delay_alu instid0(VALU_DEP_2) | instskip(NEXT) | instid1(VALU_DEP_2)
	v_add_f32_e32 v20, v123, v20
	v_dual_add_f32 v26, v26, v21 :: v_dual_fmac_f32 v167, 0xbf763a35, v92
	s_delay_alu instid0(VALU_DEP_2) | instskip(SKIP_1) | instid1(VALU_DEP_3)
	v_add_f32_e32 v21, v126, v20
	v_fma_f32 v20, 0xbe8c1d8e, v89, -v176
	v_dual_add_f32 v26, v28, v26 :: v_dual_add_f32 v27, v62, v167
	v_fma_f32 v28, 0x3ee437d1, v103, -v153
	s_delay_alu instid0(VALU_DEP_3) | instskip(NEXT) | instid1(VALU_DEP_3)
	v_add_f32_e32 v29, v61, v20
	v_add_f32_e32 v27, v168, v27
	s_delay_alu instid0(VALU_DEP_3) | instskip(NEXT) | instid1(VALU_DEP_3)
	v_add_f32_e32 v20, v28, v26
	v_add_f32_e32 v28, v30, v29
	v_fma_f32 v29, 0x3f3d2fb0, v93, -v150
	v_fmac_f32_e32 v169, 0x3f2c7751, v94
	v_add_f32_e32 v30, v62, v182
	s_delay_alu instid0(VALU_DEP_3) | instskip(NEXT) | instid1(VALU_DEP_2)
	v_add_f32_e32 v28, v29, v28
	v_dual_add_f32 v27, v169, v27 :: v_dual_add_f32 v30, v152, v30
	v_fma_f32 v29, 0x3ee437d1, v95, -v142
	s_delay_alu instid0(VALU_DEP_2) | instskip(NEXT) | instid1(VALU_DEP_3)
	v_add_f32_e32 v27, v170, v27
	v_add_f32_e32 v30, v154, v30
	s_delay_alu instid0(VALU_DEP_3) | instskip(SKIP_2) | instid1(VALU_DEP_4)
	v_add_f32_e32 v28, v29, v28
	v_fma_f32 v29, 0xbf7ba420, v97, -v144
	v_fmac_f32_e32 v171, 0xbe3c28d5, v98
	v_add_f32_e32 v30, v163, v30
	s_delay_alu instid0(VALU_DEP_2) | instskip(SKIP_1) | instid1(VALU_DEP_2)
	v_dual_add_f32 v28, v29, v28 :: v_dual_add_f32 v27, v171, v27
	v_fma_f32 v29, 0x3dbcf732, v99, -v148
	v_dual_add_f32 v30, v164, v30 :: v_dual_add_f32 v27, v145, v27
	s_delay_alu instid0(VALU_DEP_2) | instskip(SKIP_1) | instid1(VALU_DEP_3)
	v_add_f32_e32 v28, v29, v28
	v_fma_f32 v29, 0x3f6eb680, v101, -v151
	v_add_f32_e32 v26, v141, v27
	s_delay_alu instid0(VALU_DEP_2) | instskip(SKIP_1) | instid1(VALU_DEP_3)
	v_add_f32_e32 v28, v29, v28
	v_fma_f32 v29, 0xbf1a4643, v103, -v173
	v_add_f32_e32 v27, v146, v26
	v_fma_f32 v26, 0x3dbcf732, v89, -v185
	s_delay_alu instid0(VALU_DEP_1) | instskip(NEXT) | instid1(VALU_DEP_1)
	v_add_f32_e32 v26, v61, v26
	v_add_f32_e32 v26, v31, v26
	v_fma_f32 v31, 0xbe8c1d8e, v93, -v187
	s_delay_alu instid0(VALU_DEP_1) | instskip(SKIP_1) | instid1(VALU_DEP_1)
	v_add_f32_e32 v26, v31, v26
	v_fma_f32 v31, 0x3f6eb680, v95, -v205
	v_dual_fmac_f32 v165, 0xbf06c442, v100 :: v_dual_add_f32 v26, v31, v26
	v_fma_f32 v31, 0x3ee437d1, v97, -v206
	s_delay_alu instid0(VALU_DEP_2) | instskip(NEXT) | instid1(VALU_DEP_2)
	v_add_f32_e32 v30, v165, v30
	v_dual_add_f32 v31, v31, v26 :: v_dual_add_f32 v26, v29, v28
	s_delay_alu instid0(VALU_DEP_2) | instskip(NEXT) | instid1(VALU_DEP_2)
	v_add_f32_e32 v28, v172, v30
	v_add_f32_e32 v30, v41, v31
	v_fma_f32 v31, 0xbf1a4643, v101, -v200
	v_add_f32_e32 v41, v62, v183
	s_delay_alu instid0(VALU_DEP_1) | instskip(NEXT) | instid1(VALU_DEP_3)
	v_add_f32_e32 v41, v179, v41
	v_add_f32_e32 v30, v31, v30
	v_fma_f32 v31, 0x3f3d2fb0, v103, -v189
	v_add_f32_e32 v29, v177, v28
	v_fma_f32 v28, 0x3ee437d1, v89, -v195
	s_delay_alu instid0(VALU_DEP_1) | instskip(NEXT) | instid1(VALU_DEP_4)
	v_dual_fmac_f32 v155, 0x3e3c28d5, v94 :: v_dual_add_f32 v42, v61, v28
	v_add_f32_e32 v28, v31, v30
	v_fmac_f32_e32 v208, 0xbf2c7751, v92
	s_delay_alu instid0(VALU_DEP_3) | instskip(SKIP_2) | instid1(VALU_DEP_4)
	v_add_f32_e32 v30, v155, v41
	v_fma_f32 v41, 0xbf7ba420, v93, -v188
	v_dual_add_f32 v31, v43, v42 :: v_dual_fmac_f32 v156, 0x3f763a35, v96
	v_add_f32_e32 v42, v62, v208
	v_fma_f32 v43, 0x3dbcf732, v101, -v204
	s_delay_alu instid0(VALU_DEP_3) | instskip(SKIP_3) | instid1(VALU_DEP_3)
	v_add_f32_e32 v31, v41, v31
	v_fma_f32 v41, 0xbe8c1d8e, v95, -v201
	v_add_f32_e32 v30, v156, v30
	v_add_f32_e32 v42, v209, v42
	;; [unrolled: 1-line block ×3, first 2 shown]
	v_fma_f32 v41, 0x3f3d2fb0, v97, -v202
	s_delay_alu instid0(VALU_DEP_1) | instskip(SKIP_2) | instid1(VALU_DEP_2)
	v_dual_fmac_f32 v210, 0xbf4c4adb, v94 :: v_dual_add_f32 v31, v41, v31
	v_fma_f32 v41, 0x3f6eb680, v99, -v203
	v_fmac_f32_e32 v158, 0xbeb8f4ab, v100
	v_dual_add_f32 v42, v210, v42 :: v_dual_add_f32 v41, v41, v31
	s_delay_alu instid0(VALU_DEP_1) | instskip(NEXT) | instid1(VALU_DEP_1)
	v_dual_add_f32 v30, v157, v30 :: v_dual_add_f32 v41, v43, v41
	v_add_f32_e32 v30, v158, v30
	v_fma_f32 v43, 0xbf59a7d5, v103, -v213
	s_delay_alu instid0(VALU_DEP_2) | instskip(NEXT) | instid1(VALU_DEP_1)
	v_add_f32_e32 v30, v174, v30
	v_dual_fmac_f32 v196, 0x3f763a35, v100 :: v_dual_add_f32 v31, v180, v30
	v_fma_f32 v30, 0x3f3d2fb0, v89, -v214
	s_delay_alu instid0(VALU_DEP_1) | instskip(NEXT) | instid1(VALU_DEP_1)
	v_add_f32_e32 v44, v61, v30
	v_dual_add_f32 v30, v43, v41 :: v_dual_add_f32 v43, v45, v44
	v_fma_f32 v44, 0xbf1a4643, v93, -v184
	v_dual_add_f32 v42, v211, v42 :: v_dual_add_f32 v45, v62, v193
	s_delay_alu instid0(VALU_DEP_2) | instskip(SKIP_1) | instid1(VALU_DEP_2)
	v_dual_fmac_f32 v212, 0x3f06c442, v98 :: v_dual_add_f32 v43, v44, v43
	v_fma_f32 v44, 0xbf7ba420, v95, -v191
	v_dual_add_f32 v45, v194, v45 :: v_dual_add_f32 v42, v212, v42
	s_delay_alu instid0(VALU_DEP_2) | instskip(NEXT) | instid1(VALU_DEP_2)
	v_add_f32_e32 v43, v44, v43
	v_dual_add_f32 v45, v197, v45 :: v_dual_add_f32 v42, v196, v42
	v_fma_f32 v44, 0xbf59a7d5, v97, -v192
	s_delay_alu instid0(VALU_DEP_2) | instskip(SKIP_1) | instid1(VALU_DEP_1)
	v_add_f32_e32 v41, v190, v42
	v_fma_f32 v42, 0x3f6eb680, v89, -v222
	v_add_f32_e32 v42, v61, v42
	s_delay_alu instid0(VALU_DEP_1) | instskip(NEXT) | instid1(VALU_DEP_1)
	v_add_f32_e32 v42, v46, v42
	v_dual_add_f32 v37, v37, v42 :: v_dual_add_f32 v42, v44, v43
	v_fma_f32 v43, 0xbe8c1d8e, v99, -v125
	v_add_f32_e32 v44, v199, v45
	s_delay_alu instid0(VALU_DEP_2) | instskip(SKIP_1) | instid1(VALU_DEP_3)
	v_dual_add_f32 v36, v36, v37 :: v_dual_add_f32 v37, v43, v42
	v_fma_f32 v42, 0x3ee437d1, v101, -v132
	v_add_f32_e32 v43, v140, v44
	s_delay_alu instid0(VALU_DEP_3) | instskip(NEXT) | instid1(VALU_DEP_1)
	v_add_f32_e32 v33, v33, v36
	v_add_f32_e32 v32, v32, v33
	v_fma_f32 v33, 0xbf59a7d5, v101, -v34
	s_delay_alu instid0(VALU_DEP_4) | instskip(SKIP_2) | instid1(VALU_DEP_3)
	v_dual_add_f32 v36, v42, v37 :: v_dual_add_f32 v37, v175, v43
	v_and_b32_e32 v42, 0xffff, v81
	v_fma_f32 v34, 0x3f6eb680, v103, -v112
	v_add_f32_e32 v37, v39, v37
	v_add_f32_e32 v39, v33, v32
	s_delay_alu instid0(VALU_DEP_3) | instskip(SKIP_2) | instid1(VALU_DEP_4)
	v_add_f32_e32 v32, v34, v36
	v_lshl_add_u32 v42, v42, 3, v80
	v_add_f32_e32 v33, v181, v41
	v_dual_add_f32 v35, v35, v37 :: v_dual_add_f32 v34, v38, v39
	ds_store_2addr_b64 v42, v[0:1], v[24:25] offset1:1
	ds_store_2addr_b64 v42, v[75:76], v[73:74] offset0:2 offset1:3
	ds_store_2addr_b64 v42, v[71:72], v[69:70] offset0:4 offset1:5
	ds_store_2addr_b64 v42, v[67:68], v[22:23] offset0:6 offset1:7
	ds_store_2addr_b64 v42, v[63:64], v[65:66] offset0:8 offset1:9
	ds_store_2addr_b64 v42, v[2:3], v[20:21] offset0:10 offset1:11
	ds_store_2addr_b64 v42, v[26:27], v[28:29] offset0:12 offset1:13
	ds_store_2addr_b64 v42, v[30:31], v[32:33] offset0:14 offset1:15
	ds_store_b64 v42, v[34:35] offset:128
.LBB0_17:
	s_wait_alu 0xfffe
	s_or_b32 exec_lo, exec_lo, s1
	global_wb scope:SCOPE_SE
	s_wait_dscnt 0x0
	s_barrier_signal -1
	s_barrier_wait -1
	global_inv scope:SCOPE_SE
	ds_load_2addr_b64 v[0:3], v83 offset1:34
	ds_load_2addr_b64 v[28:31], v83 offset0:153 offset1:187
	ds_load_2addr_b64 v[20:23], v83 offset0:68 offset1:102
	;; [unrolled: 1-line block ×3, first 2 shown]
	s_and_saveexec_b32 s1, s0
	s_cbranch_execz .LBB0_19
; %bb.18:
	ds_load_b64 v[63:64], v83 offset:1088
	ds_load_b64 v[65:66], v83 offset:2312
.LBB0_19:
	s_wait_alu 0xfffe
	s_or_b32 exec_lo, exec_lo, s1
	s_wait_dscnt 0x2
	v_mul_f32_e32 v32, v56, v29
	s_wait_dscnt 0x0
	v_dual_mul_f32 v33, v56, v28 :: v_dual_mul_f32 v36, v58, v25
	v_mul_f32_e32 v34, v60, v31
	s_delay_alu instid0(VALU_DEP_3) | instskip(NEXT) | instid1(VALU_DEP_3)
	v_dual_mul_f32 v35, v60, v30 :: v_dual_fmac_f32 v32, v55, v28
	v_fma_f32 v28, v55, v29, -v33
	v_mul_f32_e32 v29, v58, v24
	v_mul_f32_e32 v33, v54, v26
	v_fmac_f32_e32 v34, v59, v30
	v_fma_f32 v30, v59, v31, -v35
	v_dual_mul_f32 v31, v54, v27 :: v_dual_fmac_f32 v36, v57, v24
	v_fma_f32 v29, v57, v25, -v29
	v_sub_f32_e32 v24, v0, v32
	v_fma_f32 v32, v53, v27, -v33
	s_delay_alu instid0(VALU_DEP_4) | instskip(SKIP_2) | instid1(VALU_DEP_3)
	v_fmac_f32_e32 v31, v53, v26
	v_dual_sub_f32 v25, v1, v28 :: v_dual_sub_f32 v26, v2, v34
	v_dual_sub_f32 v27, v3, v30 :: v_dual_sub_f32 v28, v20, v36
	;; [unrolled: 1-line block ×3, first 2 shown]
	v_sub_f32_e32 v31, v23, v32
	v_fma_f32 v0, v0, 2.0, -v24
	v_fma_f32 v1, v1, 2.0, -v25
	;; [unrolled: 1-line block ×8, first 2 shown]
	global_wb scope:SCOPE_SE
	s_barrier_signal -1
	s_barrier_wait -1
	global_inv scope:SCOPE_SE
	ds_store_2addr_b64 v85, v[0:1], v[24:25] offset1:17
	ds_store_2addr_b64 v88, v[2:3], v[26:27] offset1:17
	;; [unrolled: 1-line block ×4, first 2 shown]
	s_and_saveexec_b32 s1, s0
	s_cbranch_execz .LBB0_21
; %bb.20:
	v_mul_f32_e32 v0, v52, v65
	v_mul_f32_e32 v2, v52, v66
	v_lshl_add_u32 v20, v84, 3, v80
	s_delay_alu instid0(VALU_DEP_3) | instskip(NEXT) | instid1(VALU_DEP_3)
	v_fma_f32 v0, v51, v66, -v0
	v_fmac_f32_e32 v2, v51, v65
	s_delay_alu instid0(VALU_DEP_3) | instskip(NEXT) | instid1(VALU_DEP_2)
	v_add_nc_u32_e32 v20, 0x800, v20
	v_dual_sub_f32 v1, v64, v0 :: v_dual_sub_f32 v0, v63, v2
	s_delay_alu instid0(VALU_DEP_1) | instskip(NEXT) | instid1(VALU_DEP_2)
	v_fma_f32 v3, v64, 2.0, -v1
	v_fma_f32 v2, v63, 2.0, -v0
	ds_store_2addr_b64 v20, v[2:3], v[0:1] offset0:16 offset1:33
.LBB0_21:
	s_wait_alu 0xfffe
	s_or_b32 exec_lo, exec_lo, s1
	global_wb scope:SCOPE_SE
	s_wait_dscnt 0x0
	s_barrier_signal -1
	s_barrier_wait -1
	global_inv scope:SCOPE_SE
	ds_load_2addr_b64 v[0:3], v83 offset1:34
	ds_load_2addr_b64 v[20:23], v83 offset0:68 offset1:102
	ds_load_2addr_b64 v[24:27], v83 offset0:136 offset1:170
	;; [unrolled: 1-line block ×3, first 2 shown]
	ds_load_b64 v[32:33], v83 offset:2176
	s_wait_dscnt 0x3
	v_dual_mul_f32 v34, v17, v3 :: v_dual_mul_f32 v35, v19, v21
	s_wait_dscnt 0x2
	v_dual_mul_f32 v37, v15, v25 :: v_dual_mul_f32 v38, v9, v27
	v_dual_mul_f32 v19, v19, v20 :: v_dual_mul_f32 v36, v13, v23
	v_mul_f32_e32 v13, v13, v22
	v_dual_mul_f32 v15, v15, v24 :: v_dual_fmac_f32 v34, v16, v2
	s_delay_alu instid0(VALU_DEP_4)
	v_dual_fmac_f32 v35, v18, v20 :: v_dual_fmac_f32 v38, v8, v26
	v_mul_f32_e32 v9, v9, v26
	v_mul_f32_e32 v17, v17, v2
	s_wait_dscnt 0x1
	v_dual_mul_f32 v39, v11, v29 :: v_dual_fmac_f32 v36, v12, v22
	v_fma_f32 v12, v12, v23, -v13
	v_fmac_f32_e32 v37, v14, v24
	v_fma_f32 v13, v14, v25, -v15
	v_fma_f32 v14, v8, v27, -v9
	s_wait_dscnt 0x0
	v_mul_f32_e32 v8, v7, v33
	v_fma_f32 v2, v16, v3, -v17
	v_mul_f32_e32 v7, v7, v32
	v_fma_f32 v3, v18, v21, -v19
	s_delay_alu instid0(VALU_DEP_4) | instskip(NEXT) | instid1(VALU_DEP_3)
	v_fmac_f32_e32 v8, v6, v32
	v_fma_f32 v6, v6, v33, -v7
	v_mul_f32_e32 v9, v11, v28
	s_delay_alu instid0(VALU_DEP_3) | instskip(NEXT) | instid1(VALU_DEP_3)
	v_sub_f32_e32 v15, v34, v8
	v_add_f32_e32 v20, v2, v6
	s_delay_alu instid0(VALU_DEP_3) | instskip(SKIP_1) | instid1(VALU_DEP_4)
	v_fma_f32 v7, v10, v29, -v9
	v_fmac_f32_e32 v39, v10, v28
	v_dual_add_f32 v17, v34, v8 :: v_dual_mul_f32 v8, 0x3f248dbb, v15
	v_mul_f32_e32 v11, v5, v31
	s_delay_alu instid0(VALU_DEP_4) | instskip(NEXT) | instid1(VALU_DEP_4)
	v_sub_f32_e32 v22, v12, v7
	v_dual_sub_f32 v26, v37, v38 :: v_dual_sub_f32 v21, v36, v39
	v_mul_f32_e32 v5, v5, v30
	s_delay_alu instid0(VALU_DEP_4) | instskip(SKIP_4) | instid1(VALU_DEP_4)
	v_fmac_f32_e32 v11, v4, v30
	v_sub_f32_e32 v16, v2, v6
	v_add_f32_e32 v28, v37, v38
	v_add_f32_e32 v29, v13, v14
	v_fma_f32 v4, v4, v31, -v5
	v_dual_sub_f32 v18, v35, v11 :: v_dual_mul_f32 v9, 0x3f248dbb, v16
	v_add_f32_e32 v12, v12, v7
	s_delay_alu instid0(VALU_DEP_3) | instskip(NEXT) | instid1(VALU_DEP_3)
	v_dual_fmamk_f32 v2, v17, 0x3f441b7d, v0 :: v_dual_sub_f32 v19, v3, v4
	v_fmac_f32_e32 v8, 0x3f7c1c5c, v18
	v_add_f32_e32 v24, v3, v4
	v_mul_f32_e32 v10, 0xbf248dbb, v26
	v_dual_fmamk_f32 v4, v28, 0x3f441b7d, v0 :: v_dual_fmamk_f32 v5, v29, 0x3f441b7d, v1
	v_add_f32_e32 v30, v26, v15
	v_dual_fmac_f32 v8, 0x3f5db3d7, v21 :: v_dual_add_f32 v23, v35, v11
	v_sub_f32_e32 v27, v13, v14
	s_delay_alu instid0(VALU_DEP_4) | instskip(NEXT) | instid1(VALU_DEP_4)
	v_dual_add_f32 v25, v36, v39 :: v_dual_fmac_f32 v4, 0x3e31d0d4, v17
	v_sub_f32_e32 v30, v30, v18
	s_delay_alu instid0(VALU_DEP_4) | instskip(SKIP_4) | instid1(VALU_DEP_4)
	v_fmac_f32_e32 v2, 0x3e31d0d4, v23
	v_fmac_f32_e32 v9, 0x3f7c1c5c, v19
	v_mul_f32_e32 v11, 0xbf248dbb, v27
	v_fmac_f32_e32 v10, 0x3f7c1c5c, v15
	v_fmac_f32_e32 v8, 0x3eaf1d44, v26
	v_dual_fmac_f32 v2, -0.5, v25 :: v_dual_fmac_f32 v9, 0x3f5db3d7, v22
	s_delay_alu instid0(VALU_DEP_4) | instskip(NEXT) | instid1(VALU_DEP_4)
	v_dual_fmac_f32 v4, -0.5, v25 :: v_dual_fmac_f32 v11, 0x3f7c1c5c, v16
	v_fmac_f32_e32 v10, 0xbf5db3d7, v21
	v_dual_add_f32 v31, v23, v17 :: v_dual_mul_f32 v26, 0x3f7c1c5c, v26
	s_delay_alu instid0(VALU_DEP_4) | instskip(NEXT) | instid1(VALU_DEP_4)
	v_fmac_f32_e32 v2, 0xbf708fb2, v28
	v_fmac_f32_e32 v11, 0xbf5db3d7, v22
	s_delay_alu instid0(VALU_DEP_4) | instskip(NEXT) | instid1(VALU_DEP_4)
	v_dual_fmac_f32 v9, 0x3eaf1d44, v27 :: v_dual_fmac_f32 v10, 0x3eaf1d44, v18
	v_fma_f32 v18, 0xbf248dbb, v18, -v26
	v_add_f32_e32 v33, v28, v31
	v_fmac_f32_e32 v4, 0xbf708fb2, v23
	s_delay_alu instid0(VALU_DEP_4) | instskip(NEXT) | instid1(VALU_DEP_4)
	v_dual_fmamk_f32 v3, v20, 0x3f441b7d, v1 :: v_dual_sub_f32 v2, v2, v9
	v_fmac_f32_e32 v18, 0x3f5db3d7, v21
	v_fmac_f32_e32 v5, 0x3e31d0d4, v20
	v_add_f32_e32 v21, v25, v31
	v_fmac_f32_e32 v11, 0x3eaf1d44, v19
	v_fma_f32 v6, 2.0, v9, v2
	v_add_f32_e32 v32, v24, v20
	v_fmac_f32_e32 v5, -0.5, v12
	v_fmamk_f32 v23, v23, 0x3f441b7d, v0
	v_mul_f32_e32 v35, 0x3f5db3d7, v30
	v_fmac_f32_e32 v18, 0x3eaf1d44, v15
	v_add_f32_e32 v36, v29, v32
	v_fmac_f32_e32 v5, 0xbf708fb2, v24
	s_delay_alu instid0(VALU_DEP_1) | instskip(NEXT) | instid1(VALU_DEP_1)
	v_add_f32_e32 v5, v10, v5
	v_fma_f32 v9, -2.0, v10, v5
	v_add_f32_e32 v10, v25, v0
	v_dual_fmac_f32 v3, 0x3e31d0d4, v24 :: v_dual_sub_f32 v4, v4, v11
	v_fmamk_f32 v24, v24, 0x3f441b7d, v1
	s_delay_alu instid0(VALU_DEP_3) | instskip(NEXT) | instid1(VALU_DEP_2)
	v_dual_fmac_f32 v23, 0x3e31d0d4, v28 :: v_dual_fmac_f32 v10, -0.5, v33
	v_dual_fmac_f32 v3, -0.5, v12 :: v_dual_fmac_f32 v24, 0x3e31d0d4, v29
	s_delay_alu instid0(VALU_DEP_2) | instskip(NEXT) | instid1(VALU_DEP_2)
	v_fmac_f32_e32 v23, -0.5, v25
	v_dual_fmac_f32 v3, 0xbf708fb2, v29 :: v_dual_fmac_f32 v24, -0.5, v12
	s_delay_alu instid0(VALU_DEP_2) | instskip(NEXT) | instid1(VALU_DEP_2)
	v_fmac_f32_e32 v23, 0xbf708fb2, v17
	v_dual_add_f32 v3, v8, v3 :: v_dual_fmac_f32 v24, 0xbf708fb2, v20
	s_delay_alu instid0(VALU_DEP_1) | instskip(SKIP_3) | instid1(VALU_DEP_2)
	v_fma_f32 v7, -2.0, v8, v3
	v_fma_f32 v8, 2.0, v11, v4
	v_add_f32_e32 v11, v27, v16
	v_mul_f32_e32 v27, 0x3f7c1c5c, v27
	v_dual_add_f32 v15, v18, v24 :: v_dual_sub_f32 v34, v11, v19
	v_add_f32_e32 v11, v12, v1
	s_delay_alu instid0(VALU_DEP_3) | instskip(NEXT) | instid1(VALU_DEP_3)
	v_fma_f32 v19, 0xbf248dbb, v19, -v27
	v_fma_f32 v17, -2.0, v18, v15
	v_add_nc_u32_e32 v18, 0x400, v82
	s_delay_alu instid0(VALU_DEP_4) | instskip(NEXT) | instid1(VALU_DEP_4)
	v_dual_fmac_f32 v10, 0xbf5db3d7, v34 :: v_dual_fmac_f32 v11, -0.5, v36
	v_dual_fmac_f32 v19, 0x3f5db3d7, v22 :: v_dual_add_f32 v22, v12, v32
	v_dual_add_f32 v12, v37, v21 :: v_dual_mul_f32 v33, 0x3f5db3d7, v34
	s_delay_alu instid0(VALU_DEP_2) | instskip(NEXT) | instid1(VALU_DEP_2)
	v_fmac_f32_e32 v19, 0x3eaf1d44, v16
	v_dual_add_f32 v13, v13, v22 :: v_dual_add_f32 v16, v38, v12
	v_fmac_f32_e32 v11, 0x3f5db3d7, v30
	s_delay_alu instid0(VALU_DEP_4) | instskip(NEXT) | instid1(VALU_DEP_3)
	v_fma_f32 v12, 2.0, v33, v10
	v_dual_add_f32 v13, v14, v13 :: v_dual_sub_f32 v14, v23, v19
	s_delay_alu instid0(VALU_DEP_1) | instskip(NEXT) | instid1(VALU_DEP_4)
	v_dual_add_f32 v0, v16, v0 :: v_dual_add_f32 v1, v13, v1
	v_fma_f32 v13, -2.0, v35, v11
	s_delay_alu instid0(VALU_DEP_3)
	v_fma_f32 v16, 2.0, v19, v14
	ds_store_b64 v82, v[0:1]
	ds_store_2addr_b64 v82, v[2:3], v[4:5] offset0:34 offset1:68
	ds_store_2addr_b64 v82, v[10:11], v[14:15] offset0:102 offset1:136
	;; [unrolled: 1-line block ×4, first 2 shown]
	global_wb scope:SCOPE_SE
	s_wait_dscnt 0x0
	s_barrier_signal -1
	s_barrier_wait -1
	global_inv scope:SCOPE_SE
	s_and_b32 exec_lo, exec_lo, vcc_lo
	s_cbranch_execz .LBB0_23
; %bb.22:
	global_load_b64 v[0:1], v78, s[12:13]
	ds_load_b64 v[2:3], v82
	v_mad_co_u64_u32 v[6:7], null, s4, v79, 0
	s_mov_b32 s0, 0x1ac5701b
	s_mov_b32 s1, 0x3f6ac570
	s_mul_u64 s[2:3], s[4:5], 0x90
	s_wait_loadcnt_dscnt 0x0
	v_mul_f32_e32 v4, v3, v1
	v_mul_f32_e32 v1, v2, v1
	s_delay_alu instid0(VALU_DEP_2) | instskip(NEXT) | instid1(VALU_DEP_2)
	v_fmac_f32_e32 v4, v2, v0
	v_fma_f32 v2, v0, v3, -v1
	s_delay_alu instid0(VALU_DEP_2) | instskip(NEXT) | instid1(VALU_DEP_2)
	v_cvt_f64_f32_e32 v[0:1], v4
	v_cvt_f64_f32_e32 v[2:3], v2
	v_mad_co_u64_u32 v[4:5], null, s6, v40, 0
	s_wait_alu 0xfffe
	s_delay_alu instid0(VALU_DEP_3) | instskip(NEXT) | instid1(VALU_DEP_3)
	v_mul_f64_e32 v[0:1], s[0:1], v[0:1]
	v_mul_f64_e32 v[2:3], s[0:1], v[2:3]
	s_delay_alu instid0(VALU_DEP_2) | instskip(NEXT) | instid1(VALU_DEP_2)
	v_cvt_f32_f64_e32 v0, v[0:1]
	v_cvt_f32_f64_e32 v1, v[2:3]
	v_dual_mov_b32 v3, v7 :: v_dual_mov_b32 v2, v5
	s_delay_alu instid0(VALU_DEP_1) | instskip(SKIP_1) | instid1(VALU_DEP_2)
	v_mad_co_u64_u32 v[7:8], null, s7, v40, v[2:3]
	v_mad_co_u64_u32 v[2:3], null, s5, v79, v[3:4]
	v_mov_b32_e32 v5, v7
	s_delay_alu instid0(VALU_DEP_2) | instskip(NEXT) | instid1(VALU_DEP_2)
	v_mov_b32_e32 v7, v2
	v_lshlrev_b64_e32 v[2:3], 3, v[4:5]
	s_delay_alu instid0(VALU_DEP_2) | instskip(NEXT) | instid1(VALU_DEP_2)
	v_lshlrev_b64_e32 v[4:5], 3, v[6:7]
	v_add_co_u32 v8, vcc_lo, s14, v2
	s_delay_alu instid0(VALU_DEP_3) | instskip(NEXT) | instid1(VALU_DEP_2)
	v_add_co_ci_u32_e32 v9, vcc_lo, s15, v3, vcc_lo
	v_add_co_u32 v4, vcc_lo, v8, v4
	s_wait_alu 0xfffd
	s_delay_alu instid0(VALU_DEP_2)
	v_add_co_ci_u32_e32 v5, vcc_lo, v9, v5, vcc_lo
	global_store_b64 v[4:5], v[0:1], off
	global_load_b64 v[6:7], v78, s[12:13] offset:144
	ds_load_2addr_b64 v[0:3], v82 offset0:18 offset1:36
	v_add_co_u32 v4, vcc_lo, v4, s2
	s_wait_alu 0xfffd
	v_add_co_ci_u32_e32 v5, vcc_lo, s3, v5, vcc_lo
	s_wait_loadcnt_dscnt 0x0
	v_mul_f32_e32 v10, v1, v7
	v_mul_f32_e32 v7, v0, v7
	s_delay_alu instid0(VALU_DEP_2) | instskip(NEXT) | instid1(VALU_DEP_2)
	v_fmac_f32_e32 v10, v0, v6
	v_fma_f32 v6, v6, v1, -v7
	s_delay_alu instid0(VALU_DEP_2) | instskip(NEXT) | instid1(VALU_DEP_2)
	v_cvt_f64_f32_e32 v[0:1], v10
	v_cvt_f64_f32_e32 v[6:7], v6
	s_delay_alu instid0(VALU_DEP_2) | instskip(NEXT) | instid1(VALU_DEP_2)
	v_mul_f64_e32 v[0:1], s[0:1], v[0:1]
	v_mul_f64_e32 v[6:7], s[0:1], v[6:7]
	s_delay_alu instid0(VALU_DEP_2) | instskip(NEXT) | instid1(VALU_DEP_2)
	v_cvt_f32_f64_e32 v0, v[0:1]
	v_cvt_f32_f64_e32 v1, v[6:7]
	global_store_b64 v[4:5], v[0:1], off
	global_load_b64 v[0:1], v78, s[12:13] offset:288
	v_add_co_u32 v4, vcc_lo, v4, s2
	s_wait_alu 0xfffd
	v_add_co_ci_u32_e32 v5, vcc_lo, s3, v5, vcc_lo
	s_wait_loadcnt 0x0
	v_mul_f32_e32 v6, v3, v1
	v_mul_f32_e32 v1, v2, v1
	s_delay_alu instid0(VALU_DEP_2) | instskip(NEXT) | instid1(VALU_DEP_2)
	v_fmac_f32_e32 v6, v2, v0
	v_fma_f32 v2, v0, v3, -v1
	s_delay_alu instid0(VALU_DEP_2) | instskip(NEXT) | instid1(VALU_DEP_2)
	v_cvt_f64_f32_e32 v[0:1], v6
	v_cvt_f64_f32_e32 v[2:3], v2
	s_delay_alu instid0(VALU_DEP_2) | instskip(NEXT) | instid1(VALU_DEP_2)
	v_mul_f64_e32 v[0:1], s[0:1], v[0:1]
	v_mul_f64_e32 v[2:3], s[0:1], v[2:3]
	s_delay_alu instid0(VALU_DEP_2) | instskip(NEXT) | instid1(VALU_DEP_2)
	v_cvt_f32_f64_e32 v0, v[0:1]
	v_cvt_f32_f64_e32 v1, v[2:3]
	global_store_b64 v[4:5], v[0:1], off
	global_load_b64 v[6:7], v78, s[12:13] offset:432
	ds_load_2addr_b64 v[0:3], v82 offset0:54 offset1:72
	v_add_co_u32 v4, vcc_lo, v4, s2
	s_wait_alu 0xfffd
	v_add_co_ci_u32_e32 v5, vcc_lo, s3, v5, vcc_lo
	s_wait_loadcnt_dscnt 0x0
	v_mul_f32_e32 v10, v1, v7
	v_mul_f32_e32 v7, v0, v7
	s_delay_alu instid0(VALU_DEP_2) | instskip(NEXT) | instid1(VALU_DEP_2)
	v_fmac_f32_e32 v10, v0, v6
	v_fma_f32 v6, v6, v1, -v7
	s_delay_alu instid0(VALU_DEP_2) | instskip(NEXT) | instid1(VALU_DEP_2)
	v_cvt_f64_f32_e32 v[0:1], v10
	v_cvt_f64_f32_e32 v[6:7], v6
	s_delay_alu instid0(VALU_DEP_2) | instskip(NEXT) | instid1(VALU_DEP_2)
	v_mul_f64_e32 v[0:1], s[0:1], v[0:1]
	v_mul_f64_e32 v[6:7], s[0:1], v[6:7]
	s_delay_alu instid0(VALU_DEP_2) | instskip(NEXT) | instid1(VALU_DEP_2)
	v_cvt_f32_f64_e32 v0, v[0:1]
	v_cvt_f32_f64_e32 v1, v[6:7]
	global_store_b64 v[4:5], v[0:1], off
	global_load_b64 v[0:1], v78, s[12:13] offset:576
	v_add_co_u32 v4, vcc_lo, v4, s2
	s_wait_alu 0xfffd
	v_add_co_ci_u32_e32 v5, vcc_lo, s3, v5, vcc_lo
	s_wait_loadcnt 0x0
	v_mul_f32_e32 v6, v3, v1
	v_mul_f32_e32 v1, v2, v1
	s_delay_alu instid0(VALU_DEP_2) | instskip(NEXT) | instid1(VALU_DEP_2)
	v_fmac_f32_e32 v6, v2, v0
	v_fma_f32 v2, v0, v3, -v1
	s_delay_alu instid0(VALU_DEP_2) | instskip(NEXT) | instid1(VALU_DEP_2)
	v_cvt_f64_f32_e32 v[0:1], v6
	v_cvt_f64_f32_e32 v[2:3], v2
	s_delay_alu instid0(VALU_DEP_2) | instskip(NEXT) | instid1(VALU_DEP_2)
	v_mul_f64_e32 v[0:1], s[0:1], v[0:1]
	v_mul_f64_e32 v[2:3], s[0:1], v[2:3]
	s_delay_alu instid0(VALU_DEP_2) | instskip(NEXT) | instid1(VALU_DEP_2)
	v_cvt_f32_f64_e32 v0, v[0:1]
	v_cvt_f32_f64_e32 v1, v[2:3]
	;; [unrolled: 41-line block ×7, first 2 shown]
	global_store_b64 v[4:5], v[0:1], off
	global_load_b64 v[6:7], v78, s[12:13] offset:2160
	v_add_nc_u32_e32 v0, 0x800, v82
	v_add_co_u32 v4, vcc_lo, v4, s2
	s_wait_alu 0xfffd
	v_add_co_ci_u32_e32 v5, vcc_lo, s3, v5, vcc_lo
	ds_load_2addr_b64 v[0:3], v0 offset0:14 offset1:32
	s_wait_loadcnt_dscnt 0x0
	v_mul_f32_e32 v10, v1, v7
	v_mul_f32_e32 v7, v0, v7
	s_delay_alu instid0(VALU_DEP_2) | instskip(NEXT) | instid1(VALU_DEP_2)
	v_fmac_f32_e32 v10, v0, v6
	v_fma_f32 v6, v6, v1, -v7
	s_delay_alu instid0(VALU_DEP_2) | instskip(NEXT) | instid1(VALU_DEP_2)
	v_cvt_f64_f32_e32 v[0:1], v10
	v_cvt_f64_f32_e32 v[6:7], v6
	s_delay_alu instid0(VALU_DEP_2) | instskip(NEXT) | instid1(VALU_DEP_2)
	v_mul_f64_e32 v[0:1], s[0:1], v[0:1]
	v_mul_f64_e32 v[6:7], s[0:1], v[6:7]
	s_delay_alu instid0(VALU_DEP_2) | instskip(NEXT) | instid1(VALU_DEP_2)
	v_cvt_f32_f64_e32 v0, v[0:1]
	v_cvt_f32_f64_e32 v1, v[6:7]
	global_store_b64 v[4:5], v[0:1], off
	global_load_b64 v[0:1], v78, s[12:13] offset:2304
	s_wait_loadcnt 0x0
	v_mul_f32_e32 v4, v3, v1
	v_mul_f32_e32 v1, v2, v1
	s_delay_alu instid0(VALU_DEP_2) | instskip(NEXT) | instid1(VALU_DEP_2)
	v_fmac_f32_e32 v4, v2, v0
	v_fma_f32 v2, v0, v3, -v1
	s_delay_alu instid0(VALU_DEP_2) | instskip(NEXT) | instid1(VALU_DEP_2)
	v_cvt_f64_f32_e32 v[0:1], v4
	v_cvt_f64_f32_e32 v[2:3], v2
	v_mad_co_u64_u32 v[4:5], null, s4, v77, 0
	s_delay_alu instid0(VALU_DEP_3) | instskip(NEXT) | instid1(VALU_DEP_3)
	v_mul_f64_e32 v[0:1], s[0:1], v[0:1]
	v_mul_f64_e32 v[2:3], s[0:1], v[2:3]
	s_delay_alu instid0(VALU_DEP_2) | instskip(NEXT) | instid1(VALU_DEP_2)
	v_cvt_f32_f64_e32 v0, v[0:1]
	v_cvt_f32_f64_e32 v1, v[2:3]
	v_mov_b32_e32 v2, v5
	s_delay_alu instid0(VALU_DEP_1) | instskip(NEXT) | instid1(VALU_DEP_1)
	v_mad_co_u64_u32 v[2:3], null, s5, v77, v[2:3]
	v_mov_b32_e32 v5, v2
	s_delay_alu instid0(VALU_DEP_1) | instskip(NEXT) | instid1(VALU_DEP_1)
	v_lshlrev_b64_e32 v[2:3], 3, v[4:5]
	v_add_co_u32 v2, vcc_lo, v8, v2
	s_wait_alu 0xfffd
	s_delay_alu instid0(VALU_DEP_2)
	v_add_co_ci_u32_e32 v3, vcc_lo, v9, v3, vcc_lo
	global_store_b64 v[2:3], v[0:1], off
.LBB0_23:
	s_nop 0
	s_sendmsg sendmsg(MSG_DEALLOC_VGPRS)
	s_endpgm
	.section	.rodata,"a",@progbits
	.p2align	6, 0x0
	.amdhsa_kernel bluestein_single_fwd_len306_dim1_sp_op_CI_CI
		.amdhsa_group_segment_fixed_size 17136
		.amdhsa_private_segment_fixed_size 0
		.amdhsa_kernarg_size 104
		.amdhsa_user_sgpr_count 2
		.amdhsa_user_sgpr_dispatch_ptr 0
		.amdhsa_user_sgpr_queue_ptr 0
		.amdhsa_user_sgpr_kernarg_segment_ptr 1
		.amdhsa_user_sgpr_dispatch_id 0
		.amdhsa_user_sgpr_private_segment_size 0
		.amdhsa_wavefront_size32 1
		.amdhsa_uses_dynamic_stack 0
		.amdhsa_enable_private_segment 0
		.amdhsa_system_sgpr_workgroup_id_x 1
		.amdhsa_system_sgpr_workgroup_id_y 0
		.amdhsa_system_sgpr_workgroup_id_z 0
		.amdhsa_system_sgpr_workgroup_info 0
		.amdhsa_system_vgpr_workitem_id 0
		.amdhsa_next_free_vgpr 223
		.amdhsa_next_free_sgpr 16
		.amdhsa_reserve_vcc 1
		.amdhsa_float_round_mode_32 0
		.amdhsa_float_round_mode_16_64 0
		.amdhsa_float_denorm_mode_32 3
		.amdhsa_float_denorm_mode_16_64 3
		.amdhsa_fp16_overflow 0
		.amdhsa_workgroup_processor_mode 1
		.amdhsa_memory_ordered 1
		.amdhsa_forward_progress 0
		.amdhsa_round_robin_scheduling 0
		.amdhsa_exception_fp_ieee_invalid_op 0
		.amdhsa_exception_fp_denorm_src 0
		.amdhsa_exception_fp_ieee_div_zero 0
		.amdhsa_exception_fp_ieee_overflow 0
		.amdhsa_exception_fp_ieee_underflow 0
		.amdhsa_exception_fp_ieee_inexact 0
		.amdhsa_exception_int_div_zero 0
	.end_amdhsa_kernel
	.text
.Lfunc_end0:
	.size	bluestein_single_fwd_len306_dim1_sp_op_CI_CI, .Lfunc_end0-bluestein_single_fwd_len306_dim1_sp_op_CI_CI
                                        ; -- End function
	.section	.AMDGPU.csdata,"",@progbits
; Kernel info:
; codeLenInByte = 19116
; NumSgprs: 18
; NumVgprs: 223
; ScratchSize: 0
; MemoryBound: 0
; FloatMode: 240
; IeeeMode: 1
; LDSByteSize: 17136 bytes/workgroup (compile time only)
; SGPRBlocks: 2
; VGPRBlocks: 27
; NumSGPRsForWavesPerEU: 18
; NumVGPRsForWavesPerEU: 223
; Occupancy: 6
; WaveLimiterHint : 1
; COMPUTE_PGM_RSRC2:SCRATCH_EN: 0
; COMPUTE_PGM_RSRC2:USER_SGPR: 2
; COMPUTE_PGM_RSRC2:TRAP_HANDLER: 0
; COMPUTE_PGM_RSRC2:TGID_X_EN: 1
; COMPUTE_PGM_RSRC2:TGID_Y_EN: 0
; COMPUTE_PGM_RSRC2:TGID_Z_EN: 0
; COMPUTE_PGM_RSRC2:TIDIG_COMP_CNT: 0
	.text
	.p2alignl 7, 3214868480
	.fill 96, 4, 3214868480
	.type	__hip_cuid_5a89ee6067937990,@object ; @__hip_cuid_5a89ee6067937990
	.section	.bss,"aw",@nobits
	.globl	__hip_cuid_5a89ee6067937990
__hip_cuid_5a89ee6067937990:
	.byte	0                               ; 0x0
	.size	__hip_cuid_5a89ee6067937990, 1

	.ident	"AMD clang version 19.0.0git (https://github.com/RadeonOpenCompute/llvm-project roc-6.4.0 25133 c7fe45cf4b819c5991fe208aaa96edf142730f1d)"
	.section	".note.GNU-stack","",@progbits
	.addrsig
	.addrsig_sym __hip_cuid_5a89ee6067937990
	.amdgpu_metadata
---
amdhsa.kernels:
  - .args:
      - .actual_access:  read_only
        .address_space:  global
        .offset:         0
        .size:           8
        .value_kind:     global_buffer
      - .actual_access:  read_only
        .address_space:  global
        .offset:         8
        .size:           8
        .value_kind:     global_buffer
      - .actual_access:  read_only
        .address_space:  global
        .offset:         16
        .size:           8
        .value_kind:     global_buffer
      - .actual_access:  read_only
        .address_space:  global
        .offset:         24
        .size:           8
        .value_kind:     global_buffer
      - .actual_access:  read_only
        .address_space:  global
        .offset:         32
        .size:           8
        .value_kind:     global_buffer
      - .offset:         40
        .size:           8
        .value_kind:     by_value
      - .address_space:  global
        .offset:         48
        .size:           8
        .value_kind:     global_buffer
      - .address_space:  global
        .offset:         56
        .size:           8
        .value_kind:     global_buffer
      - .address_space:  global
        .offset:         64
        .size:           8
        .value_kind:     global_buffer
      - .address_space:  global
        .offset:         72
        .size:           8
        .value_kind:     global_buffer
      - .offset:         80
        .size:           4
        .value_kind:     by_value
      - .address_space:  global
        .offset:         88
        .size:           8
        .value_kind:     global_buffer
      - .address_space:  global
        .offset:         96
        .size:           8
        .value_kind:     global_buffer
    .group_segment_fixed_size: 17136
    .kernarg_segment_align: 8
    .kernarg_segment_size: 104
    .language:       OpenCL C
    .language_version:
      - 2
      - 0
    .max_flat_workgroup_size: 238
    .name:           bluestein_single_fwd_len306_dim1_sp_op_CI_CI
    .private_segment_fixed_size: 0
    .sgpr_count:     18
    .sgpr_spill_count: 0
    .symbol:         bluestein_single_fwd_len306_dim1_sp_op_CI_CI.kd
    .uniform_work_group_size: 1
    .uses_dynamic_stack: false
    .vgpr_count:     223
    .vgpr_spill_count: 0
    .wavefront_size: 32
    .workgroup_processor_mode: 1
amdhsa.target:   amdgcn-amd-amdhsa--gfx1201
amdhsa.version:
  - 1
  - 2
...

	.end_amdgpu_metadata
